;; amdgpu-corpus repo=ROCm/rocBLAS kind=compiled arch=gfx950 opt=O3
	.amdgcn_target "amdgcn-amd-amdhsa--gfx950"
	.amdhsa_code_object_version 6
	.section	.text._ZL26rocblas_dgmm_gfx942_kernelILi32ELi32ELb0EPKfPfEviiT2_lllS3_lllT3_lll,"axG",@progbits,_ZL26rocblas_dgmm_gfx942_kernelILi32ELi32ELb0EPKfPfEviiT2_lllS3_lllT3_lll,comdat
	.globl	_ZL26rocblas_dgmm_gfx942_kernelILi32ELi32ELb0EPKfPfEviiT2_lllS3_lllT3_lll ; -- Begin function _ZL26rocblas_dgmm_gfx942_kernelILi32ELi32ELb0EPKfPfEviiT2_lllS3_lllT3_lll
	.p2align	8
	.type	_ZL26rocblas_dgmm_gfx942_kernelILi32ELi32ELb0EPKfPfEviiT2_lllS3_lllT3_lll,@function
_ZL26rocblas_dgmm_gfx942_kernelILi32ELi32ELb0EPKfPfEviiT2_lllS3_lllT3_lll: ; @_ZL26rocblas_dgmm_gfx942_kernelILi32ELi32ELb0EPKfPfEviiT2_lllS3_lllT3_lll
; %bb.0:
	s_endpgm
	.section	.rodata,"a",@progbits
	.p2align	6, 0x0
	.amdhsa_kernel _ZL26rocblas_dgmm_gfx942_kernelILi32ELi32ELb0EPKfPfEviiT2_lllS3_lllT3_lll
		.amdhsa_group_segment_fixed_size 0
		.amdhsa_private_segment_fixed_size 0
		.amdhsa_kernarg_size 104
		.amdhsa_user_sgpr_count 2
		.amdhsa_user_sgpr_dispatch_ptr 0
		.amdhsa_user_sgpr_queue_ptr 0
		.amdhsa_user_sgpr_kernarg_segment_ptr 1
		.amdhsa_user_sgpr_dispatch_id 0
		.amdhsa_user_sgpr_kernarg_preload_length 0
		.amdhsa_user_sgpr_kernarg_preload_offset 0
		.amdhsa_user_sgpr_private_segment_size 0
		.amdhsa_uses_dynamic_stack 0
		.amdhsa_enable_private_segment 0
		.amdhsa_system_sgpr_workgroup_id_x 1
		.amdhsa_system_sgpr_workgroup_id_y 0
		.amdhsa_system_sgpr_workgroup_id_z 0
		.amdhsa_system_sgpr_workgroup_info 0
		.amdhsa_system_vgpr_workitem_id 0
		.amdhsa_next_free_vgpr 1
		.amdhsa_next_free_sgpr 0
		.amdhsa_accum_offset 4
		.amdhsa_reserve_vcc 0
		.amdhsa_float_round_mode_32 0
		.amdhsa_float_round_mode_16_64 0
		.amdhsa_float_denorm_mode_32 3
		.amdhsa_float_denorm_mode_16_64 3
		.amdhsa_dx10_clamp 1
		.amdhsa_ieee_mode 1
		.amdhsa_fp16_overflow 0
		.amdhsa_tg_split 0
		.amdhsa_exception_fp_ieee_invalid_op 0
		.amdhsa_exception_fp_denorm_src 0
		.amdhsa_exception_fp_ieee_div_zero 0
		.amdhsa_exception_fp_ieee_overflow 0
		.amdhsa_exception_fp_ieee_underflow 0
		.amdhsa_exception_fp_ieee_inexact 0
		.amdhsa_exception_int_div_zero 0
	.end_amdhsa_kernel
	.section	.text._ZL26rocblas_dgmm_gfx942_kernelILi32ELi32ELb0EPKfPfEviiT2_lllS3_lllT3_lll,"axG",@progbits,_ZL26rocblas_dgmm_gfx942_kernelILi32ELi32ELb0EPKfPfEviiT2_lllS3_lllT3_lll,comdat
.Lfunc_end0:
	.size	_ZL26rocblas_dgmm_gfx942_kernelILi32ELi32ELb0EPKfPfEviiT2_lllS3_lllT3_lll, .Lfunc_end0-_ZL26rocblas_dgmm_gfx942_kernelILi32ELi32ELb0EPKfPfEviiT2_lllS3_lllT3_lll
                                        ; -- End function
	.set _ZL26rocblas_dgmm_gfx942_kernelILi32ELi32ELb0EPKfPfEviiT2_lllS3_lllT3_lll.num_vgpr, 0
	.set _ZL26rocblas_dgmm_gfx942_kernelILi32ELi32ELb0EPKfPfEviiT2_lllS3_lllT3_lll.num_agpr, 0
	.set _ZL26rocblas_dgmm_gfx942_kernelILi32ELi32ELb0EPKfPfEviiT2_lllS3_lllT3_lll.numbered_sgpr, 0
	.set _ZL26rocblas_dgmm_gfx942_kernelILi32ELi32ELb0EPKfPfEviiT2_lllS3_lllT3_lll.num_named_barrier, 0
	.set _ZL26rocblas_dgmm_gfx942_kernelILi32ELi32ELb0EPKfPfEviiT2_lllS3_lllT3_lll.private_seg_size, 0
	.set _ZL26rocblas_dgmm_gfx942_kernelILi32ELi32ELb0EPKfPfEviiT2_lllS3_lllT3_lll.uses_vcc, 0
	.set _ZL26rocblas_dgmm_gfx942_kernelILi32ELi32ELb0EPKfPfEviiT2_lllS3_lllT3_lll.uses_flat_scratch, 0
	.set _ZL26rocblas_dgmm_gfx942_kernelILi32ELi32ELb0EPKfPfEviiT2_lllS3_lllT3_lll.has_dyn_sized_stack, 0
	.set _ZL26rocblas_dgmm_gfx942_kernelILi32ELi32ELb0EPKfPfEviiT2_lllS3_lllT3_lll.has_recursion, 0
	.set _ZL26rocblas_dgmm_gfx942_kernelILi32ELi32ELb0EPKfPfEviiT2_lllS3_lllT3_lll.has_indirect_call, 0
	.section	.AMDGPU.csdata,"",@progbits
; Kernel info:
; codeLenInByte = 4
; TotalNumSgprs: 6
; NumVgprs: 0
; NumAgprs: 0
; TotalNumVgprs: 0
; ScratchSize: 0
; MemoryBound: 0
; FloatMode: 240
; IeeeMode: 1
; LDSByteSize: 0 bytes/workgroup (compile time only)
; SGPRBlocks: 0
; VGPRBlocks: 0
; NumSGPRsForWavesPerEU: 6
; NumVGPRsForWavesPerEU: 1
; AccumOffset: 4
; Occupancy: 8
; WaveLimiterHint : 0
; COMPUTE_PGM_RSRC2:SCRATCH_EN: 0
; COMPUTE_PGM_RSRC2:USER_SGPR: 2
; COMPUTE_PGM_RSRC2:TRAP_HANDLER: 0
; COMPUTE_PGM_RSRC2:TGID_X_EN: 1
; COMPUTE_PGM_RSRC2:TGID_Y_EN: 0
; COMPUTE_PGM_RSRC2:TGID_Z_EN: 0
; COMPUTE_PGM_RSRC2:TIDIG_COMP_CNT: 0
; COMPUTE_PGM_RSRC3_GFX90A:ACCUM_OFFSET: 0
; COMPUTE_PGM_RSRC3_GFX90A:TG_SPLIT: 0
	.section	.text._ZL19rocblas_dgmm_kernelILi16ELi16ELb0EPKfPfEviiT2_lllS3_lllT3_llli,"axG",@progbits,_ZL19rocblas_dgmm_kernelILi16ELi16ELb0EPKfPfEviiT2_lllS3_lllT3_llli,comdat
	.globl	_ZL19rocblas_dgmm_kernelILi16ELi16ELb0EPKfPfEviiT2_lllS3_lllT3_llli ; -- Begin function _ZL19rocblas_dgmm_kernelILi16ELi16ELb0EPKfPfEviiT2_lllS3_lllT3_llli
	.p2align	8
	.type	_ZL19rocblas_dgmm_kernelILi16ELi16ELb0EPKfPfEviiT2_lllS3_lllT3_llli,@function
_ZL19rocblas_dgmm_kernelILi16ELi16ELb0EPKfPfEviiT2_lllS3_lllT3_llli: ; @_ZL19rocblas_dgmm_kernelILi16ELi16ELb0EPKfPfEviiT2_lllS3_lllT3_llli
; %bb.0:
	s_load_dwordx2 s[6:7], s[0:1], 0x0
	v_and_b32_e32 v1, 0x3ff, v0
	v_bfe_u32 v0, v0, 10, 10
	v_lshl_add_u32 v2, s2, 4, v1
	v_lshl_add_u32 v6, s3, 4, v0
	s_waitcnt lgkmcnt(0)
	v_cmp_gt_i32_e32 vcc, s6, v2
	v_cmp_gt_i32_e64 s[2:3], s7, v6
	s_and_b64 s[2:3], vcc, s[2:3]
	s_and_saveexec_b64 s[8:9], s[2:3]
	s_cbranch_execz .LBB1_3
; %bb.1:
	s_load_dwordx8 s[24:31], s[0:1], 0x48
	s_load_dwordx16 s[8:23], s[0:1], 0x8
	v_ashrrev_i32_e32 v3, 31, v2
	v_lshlrev_b64 v[4:5], 2, v[2:3]
	s_waitcnt lgkmcnt(0)
	s_lshl_b64 s[2:3], s[26:27], 2
	s_add_u32 s6, s24, s2
	s_mul_i32 s5, s15, s4
	s_addc_u32 s15, s25, s3
	s_lshl_b64 s[2:3], s[18:19], 2
	s_add_u32 s16, s16, s2
	s_addc_u32 s17, s17, s3
	s_lshl_b64 s[2:3], s[10:11], 2
	s_add_u32 s8, s8, s2
	s_mul_hi_u32 s2, s14, s4
	s_addc_u32 s9, s9, s3
	s_add_i32 s3, s2, s5
	s_mul_i32 s2, s14, s4
	s_lshl_b64 s[2:3], s[2:3], 2
	s_add_u32 s2, s8, s2
	s_mul_i32 s5, s23, s4
	s_mul_hi_u32 s8, s22, s4
	s_addc_u32 s3, s9, s3
	s_add_i32 s9, s8, s5
	s_mul_i32 s8, s22, s4
	s_lshl_b64 s[8:9], s[8:9], 2
	s_add_u32 s8, s16, s8
	s_mul_i32 s5, s31, s4
	s_mul_hi_u32 s10, s30, s4
	v_lshl_add_u64 v[0:1], s[2:3], 0, v[4:5]
	s_load_dword s2, s[0:1], 0x74
	s_addc_u32 s9, s17, s9
	s_add_i32 s5, s10, s5
	s_mul_i32 s4, s30, s4
	s_lshl_b64 s[4:5], s[4:5], 2
	s_add_u32 s4, s6, s4
	v_mul_lo_u32 v7, s21, v2
	v_mul_lo_u32 v8, s20, v3
	v_mad_u64_u32 v[2:3], s[0:1], s20, v2, 0
	s_addc_u32 s5, s15, s5
	v_add3_u32 v3, v3, v8, v7
	v_lshl_add_u64 v[2:3], v[2:3], 2, s[8:9]
	v_lshl_add_u64 v[4:5], s[4:5], 0, v[4:5]
	s_waitcnt lgkmcnt(0)
	s_lshl_b32 s2, s2, 4
	s_mov_b64 s[0:1], 0
.LBB1_2:                                ; =>This Inner Loop Header: Depth=1
	v_ashrrev_i32_e32 v7, 31, v6
	v_mul_lo_u32 v10, s13, v6
	v_mad_u64_u32 v[8:9], s[4:5], s12, v6, 0
	v_mul_lo_u32 v12, s12, v7
	v_add3_u32 v9, v9, v12, v10
	v_lshl_add_u64 v[8:9], v[8:9], 2, v[0:1]
	global_load_dword v11, v[2:3], off
	global_load_dword v10, v[8:9], off
	v_mul_lo_u32 v12, s29, v6
	v_mad_u64_u32 v[8:9], s[4:5], s28, v6, 0
	v_add_u32_e32 v6, s2, v6
	v_mul_lo_u32 v7, s28, v7
	v_cmp_le_i32_e32 vcc, s7, v6
	v_add3_u32 v9, v9, v7, v12
	s_or_b64 s[0:1], vcc, s[0:1]
	v_lshl_add_u64 v[8:9], v[8:9], 2, v[4:5]
	s_waitcnt vmcnt(0)
	v_mul_f32_e32 v7, v10, v11
	global_store_dword v[8:9], v7, off
	s_andn2_b64 exec, exec, s[0:1]
	s_cbranch_execnz .LBB1_2
.LBB1_3:
	s_endpgm
	.section	.rodata,"a",@progbits
	.p2align	6, 0x0
	.amdhsa_kernel _ZL19rocblas_dgmm_kernelILi16ELi16ELb0EPKfPfEviiT2_lllS3_lllT3_llli
		.amdhsa_group_segment_fixed_size 0
		.amdhsa_private_segment_fixed_size 0
		.amdhsa_kernarg_size 368
		.amdhsa_user_sgpr_count 2
		.amdhsa_user_sgpr_dispatch_ptr 0
		.amdhsa_user_sgpr_queue_ptr 0
		.amdhsa_user_sgpr_kernarg_segment_ptr 1
		.amdhsa_user_sgpr_dispatch_id 0
		.amdhsa_user_sgpr_kernarg_preload_length 0
		.amdhsa_user_sgpr_kernarg_preload_offset 0
		.amdhsa_user_sgpr_private_segment_size 0
		.amdhsa_uses_dynamic_stack 0
		.amdhsa_enable_private_segment 0
		.amdhsa_system_sgpr_workgroup_id_x 1
		.amdhsa_system_sgpr_workgroup_id_y 1
		.amdhsa_system_sgpr_workgroup_id_z 1
		.amdhsa_system_sgpr_workgroup_info 0
		.amdhsa_system_vgpr_workitem_id 1
		.amdhsa_next_free_vgpr 13
		.amdhsa_next_free_sgpr 32
		.amdhsa_accum_offset 16
		.amdhsa_reserve_vcc 1
		.amdhsa_float_round_mode_32 0
		.amdhsa_float_round_mode_16_64 0
		.amdhsa_float_denorm_mode_32 3
		.amdhsa_float_denorm_mode_16_64 3
		.amdhsa_dx10_clamp 1
		.amdhsa_ieee_mode 1
		.amdhsa_fp16_overflow 0
		.amdhsa_tg_split 0
		.amdhsa_exception_fp_ieee_invalid_op 0
		.amdhsa_exception_fp_denorm_src 0
		.amdhsa_exception_fp_ieee_div_zero 0
		.amdhsa_exception_fp_ieee_overflow 0
		.amdhsa_exception_fp_ieee_underflow 0
		.amdhsa_exception_fp_ieee_inexact 0
		.amdhsa_exception_int_div_zero 0
	.end_amdhsa_kernel
	.section	.text._ZL19rocblas_dgmm_kernelILi16ELi16ELb0EPKfPfEviiT2_lllS3_lllT3_llli,"axG",@progbits,_ZL19rocblas_dgmm_kernelILi16ELi16ELb0EPKfPfEviiT2_lllS3_lllT3_llli,comdat
.Lfunc_end1:
	.size	_ZL19rocblas_dgmm_kernelILi16ELi16ELb0EPKfPfEviiT2_lllS3_lllT3_llli, .Lfunc_end1-_ZL19rocblas_dgmm_kernelILi16ELi16ELb0EPKfPfEviiT2_lllS3_lllT3_llli
                                        ; -- End function
	.set _ZL19rocblas_dgmm_kernelILi16ELi16ELb0EPKfPfEviiT2_lllS3_lllT3_llli.num_vgpr, 13
	.set _ZL19rocblas_dgmm_kernelILi16ELi16ELb0EPKfPfEviiT2_lllS3_lllT3_llli.num_agpr, 0
	.set _ZL19rocblas_dgmm_kernelILi16ELi16ELb0EPKfPfEviiT2_lllS3_lllT3_llli.numbered_sgpr, 32
	.set _ZL19rocblas_dgmm_kernelILi16ELi16ELb0EPKfPfEviiT2_lllS3_lllT3_llli.num_named_barrier, 0
	.set _ZL19rocblas_dgmm_kernelILi16ELi16ELb0EPKfPfEviiT2_lllS3_lllT3_llli.private_seg_size, 0
	.set _ZL19rocblas_dgmm_kernelILi16ELi16ELb0EPKfPfEviiT2_lllS3_lllT3_llli.uses_vcc, 1
	.set _ZL19rocblas_dgmm_kernelILi16ELi16ELb0EPKfPfEviiT2_lllS3_lllT3_llli.uses_flat_scratch, 0
	.set _ZL19rocblas_dgmm_kernelILi16ELi16ELb0EPKfPfEviiT2_lllS3_lllT3_llli.has_dyn_sized_stack, 0
	.set _ZL19rocblas_dgmm_kernelILi16ELi16ELb0EPKfPfEviiT2_lllS3_lllT3_llli.has_recursion, 0
	.set _ZL19rocblas_dgmm_kernelILi16ELi16ELb0EPKfPfEviiT2_lllS3_lllT3_llli.has_indirect_call, 0
	.section	.AMDGPU.csdata,"",@progbits
; Kernel info:
; codeLenInByte = 436
; TotalNumSgprs: 38
; NumVgprs: 13
; NumAgprs: 0
; TotalNumVgprs: 13
; ScratchSize: 0
; MemoryBound: 0
; FloatMode: 240
; IeeeMode: 1
; LDSByteSize: 0 bytes/workgroup (compile time only)
; SGPRBlocks: 4
; VGPRBlocks: 1
; NumSGPRsForWavesPerEU: 38
; NumVGPRsForWavesPerEU: 13
; AccumOffset: 16
; Occupancy: 8
; WaveLimiterHint : 0
; COMPUTE_PGM_RSRC2:SCRATCH_EN: 0
; COMPUTE_PGM_RSRC2:USER_SGPR: 2
; COMPUTE_PGM_RSRC2:TRAP_HANDLER: 0
; COMPUTE_PGM_RSRC2:TGID_X_EN: 1
; COMPUTE_PGM_RSRC2:TGID_Y_EN: 1
; COMPUTE_PGM_RSRC2:TGID_Z_EN: 1
; COMPUTE_PGM_RSRC2:TIDIG_COMP_CNT: 1
; COMPUTE_PGM_RSRC3_GFX90A:ACCUM_OFFSET: 3
; COMPUTE_PGM_RSRC3_GFX90A:TG_SPLIT: 0
	.section	.text._ZL26rocblas_dgmm_gfx942_kernelILi32ELi32ELb1EPKfPfEviiT2_lllS3_lllT3_lll,"axG",@progbits,_ZL26rocblas_dgmm_gfx942_kernelILi32ELi32ELb1EPKfPfEviiT2_lllS3_lllT3_lll,comdat
	.globl	_ZL26rocblas_dgmm_gfx942_kernelILi32ELi32ELb1EPKfPfEviiT2_lllS3_lllT3_lll ; -- Begin function _ZL26rocblas_dgmm_gfx942_kernelILi32ELi32ELb1EPKfPfEviiT2_lllS3_lllT3_lll
	.p2align	8
	.type	_ZL26rocblas_dgmm_gfx942_kernelILi32ELi32ELb1EPKfPfEviiT2_lllS3_lllT3_lll,@function
_ZL26rocblas_dgmm_gfx942_kernelILi32ELi32ELb1EPKfPfEviiT2_lllS3_lllT3_lll: ; @_ZL26rocblas_dgmm_gfx942_kernelILi32ELi32ELb1EPKfPfEviiT2_lllS3_lllT3_lll
; %bb.0:
	s_endpgm
	.section	.rodata,"a",@progbits
	.p2align	6, 0x0
	.amdhsa_kernel _ZL26rocblas_dgmm_gfx942_kernelILi32ELi32ELb1EPKfPfEviiT2_lllS3_lllT3_lll
		.amdhsa_group_segment_fixed_size 0
		.amdhsa_private_segment_fixed_size 0
		.amdhsa_kernarg_size 104
		.amdhsa_user_sgpr_count 2
		.amdhsa_user_sgpr_dispatch_ptr 0
		.amdhsa_user_sgpr_queue_ptr 0
		.amdhsa_user_sgpr_kernarg_segment_ptr 1
		.amdhsa_user_sgpr_dispatch_id 0
		.amdhsa_user_sgpr_kernarg_preload_length 0
		.amdhsa_user_sgpr_kernarg_preload_offset 0
		.amdhsa_user_sgpr_private_segment_size 0
		.amdhsa_uses_dynamic_stack 0
		.amdhsa_enable_private_segment 0
		.amdhsa_system_sgpr_workgroup_id_x 1
		.amdhsa_system_sgpr_workgroup_id_y 0
		.amdhsa_system_sgpr_workgroup_id_z 0
		.amdhsa_system_sgpr_workgroup_info 0
		.amdhsa_system_vgpr_workitem_id 0
		.amdhsa_next_free_vgpr 1
		.amdhsa_next_free_sgpr 0
		.amdhsa_accum_offset 4
		.amdhsa_reserve_vcc 0
		.amdhsa_float_round_mode_32 0
		.amdhsa_float_round_mode_16_64 0
		.amdhsa_float_denorm_mode_32 3
		.amdhsa_float_denorm_mode_16_64 3
		.amdhsa_dx10_clamp 1
		.amdhsa_ieee_mode 1
		.amdhsa_fp16_overflow 0
		.amdhsa_tg_split 0
		.amdhsa_exception_fp_ieee_invalid_op 0
		.amdhsa_exception_fp_denorm_src 0
		.amdhsa_exception_fp_ieee_div_zero 0
		.amdhsa_exception_fp_ieee_overflow 0
		.amdhsa_exception_fp_ieee_underflow 0
		.amdhsa_exception_fp_ieee_inexact 0
		.amdhsa_exception_int_div_zero 0
	.end_amdhsa_kernel
	.section	.text._ZL26rocblas_dgmm_gfx942_kernelILi32ELi32ELb1EPKfPfEviiT2_lllS3_lllT3_lll,"axG",@progbits,_ZL26rocblas_dgmm_gfx942_kernelILi32ELi32ELb1EPKfPfEviiT2_lllS3_lllT3_lll,comdat
.Lfunc_end2:
	.size	_ZL26rocblas_dgmm_gfx942_kernelILi32ELi32ELb1EPKfPfEviiT2_lllS3_lllT3_lll, .Lfunc_end2-_ZL26rocblas_dgmm_gfx942_kernelILi32ELi32ELb1EPKfPfEviiT2_lllS3_lllT3_lll
                                        ; -- End function
	.set _ZL26rocblas_dgmm_gfx942_kernelILi32ELi32ELb1EPKfPfEviiT2_lllS3_lllT3_lll.num_vgpr, 0
	.set _ZL26rocblas_dgmm_gfx942_kernelILi32ELi32ELb1EPKfPfEviiT2_lllS3_lllT3_lll.num_agpr, 0
	.set _ZL26rocblas_dgmm_gfx942_kernelILi32ELi32ELb1EPKfPfEviiT2_lllS3_lllT3_lll.numbered_sgpr, 0
	.set _ZL26rocblas_dgmm_gfx942_kernelILi32ELi32ELb1EPKfPfEviiT2_lllS3_lllT3_lll.num_named_barrier, 0
	.set _ZL26rocblas_dgmm_gfx942_kernelILi32ELi32ELb1EPKfPfEviiT2_lllS3_lllT3_lll.private_seg_size, 0
	.set _ZL26rocblas_dgmm_gfx942_kernelILi32ELi32ELb1EPKfPfEviiT2_lllS3_lllT3_lll.uses_vcc, 0
	.set _ZL26rocblas_dgmm_gfx942_kernelILi32ELi32ELb1EPKfPfEviiT2_lllS3_lllT3_lll.uses_flat_scratch, 0
	.set _ZL26rocblas_dgmm_gfx942_kernelILi32ELi32ELb1EPKfPfEviiT2_lllS3_lllT3_lll.has_dyn_sized_stack, 0
	.set _ZL26rocblas_dgmm_gfx942_kernelILi32ELi32ELb1EPKfPfEviiT2_lllS3_lllT3_lll.has_recursion, 0
	.set _ZL26rocblas_dgmm_gfx942_kernelILi32ELi32ELb1EPKfPfEviiT2_lllS3_lllT3_lll.has_indirect_call, 0
	.section	.AMDGPU.csdata,"",@progbits
; Kernel info:
; codeLenInByte = 4
; TotalNumSgprs: 6
; NumVgprs: 0
; NumAgprs: 0
; TotalNumVgprs: 0
; ScratchSize: 0
; MemoryBound: 0
; FloatMode: 240
; IeeeMode: 1
; LDSByteSize: 0 bytes/workgroup (compile time only)
; SGPRBlocks: 0
; VGPRBlocks: 0
; NumSGPRsForWavesPerEU: 6
; NumVGPRsForWavesPerEU: 1
; AccumOffset: 4
; Occupancy: 8
; WaveLimiterHint : 0
; COMPUTE_PGM_RSRC2:SCRATCH_EN: 0
; COMPUTE_PGM_RSRC2:USER_SGPR: 2
; COMPUTE_PGM_RSRC2:TRAP_HANDLER: 0
; COMPUTE_PGM_RSRC2:TGID_X_EN: 1
; COMPUTE_PGM_RSRC2:TGID_Y_EN: 0
; COMPUTE_PGM_RSRC2:TGID_Z_EN: 0
; COMPUTE_PGM_RSRC2:TIDIG_COMP_CNT: 0
; COMPUTE_PGM_RSRC3_GFX90A:ACCUM_OFFSET: 0
; COMPUTE_PGM_RSRC3_GFX90A:TG_SPLIT: 0
	.section	.text._ZL19rocblas_dgmm_kernelILi16ELi16ELb1EPKfPfEviiT2_lllS3_lllT3_llli,"axG",@progbits,_ZL19rocblas_dgmm_kernelILi16ELi16ELb1EPKfPfEviiT2_lllS3_lllT3_llli,comdat
	.globl	_ZL19rocblas_dgmm_kernelILi16ELi16ELb1EPKfPfEviiT2_lllS3_lllT3_llli ; -- Begin function _ZL19rocblas_dgmm_kernelILi16ELi16ELb1EPKfPfEviiT2_lllS3_lllT3_llli
	.p2align	8
	.type	_ZL19rocblas_dgmm_kernelILi16ELi16ELb1EPKfPfEviiT2_lllS3_lllT3_llli,@function
_ZL19rocblas_dgmm_kernelILi16ELi16ELb1EPKfPfEviiT2_lllS3_lllT3_llli: ; @_ZL19rocblas_dgmm_kernelILi16ELi16ELb1EPKfPfEviiT2_lllS3_lllT3_llli
; %bb.0:
	s_load_dwordx2 s[6:7], s[0:1], 0x0
	v_and_b32_e32 v1, 0x3ff, v0
	v_bfe_u32 v0, v0, 10, 10
	v_lshl_add_u32 v2, s2, 4, v1
	v_lshl_add_u32 v4, s3, 4, v0
	s_waitcnt lgkmcnt(0)
	v_cmp_gt_i32_e32 vcc, s6, v2
	v_cmp_gt_i32_e64 s[2:3], s7, v4
	s_and_b64 s[2:3], vcc, s[2:3]
	s_and_saveexec_b64 s[8:9], s[2:3]
	s_cbranch_execz .LBB3_3
; %bb.1:
	s_load_dwordx8 s[24:31], s[0:1], 0x48
	s_load_dwordx16 s[8:23], s[0:1], 0x8
	v_ashrrev_i32_e32 v3, 31, v2
	s_load_dword s0, s[0:1], 0x74
	v_lshlrev_b64 v[2:3], 2, v[2:3]
	s_waitcnt lgkmcnt(0)
	s_lshl_b64 s[2:3], s[26:27], 2
	s_add_u32 s6, s24, s2
	s_mul_i32 s5, s15, s4
	s_addc_u32 s15, s25, s3
	s_lshl_b64 s[2:3], s[18:19], 2
	s_add_u32 s16, s16, s2
	s_addc_u32 s17, s17, s3
	s_lshl_b64 s[2:3], s[10:11], 2
	s_add_u32 s8, s8, s2
	s_mul_hi_u32 s2, s14, s4
	s_addc_u32 s9, s9, s3
	s_add_i32 s3, s2, s5
	s_mul_i32 s2, s14, s4
	s_lshl_b64 s[2:3], s[2:3], 2
	s_add_u32 s8, s8, s2
	s_addc_u32 s9, s9, s3
	s_mul_i32 s2, s23, s4
	s_mul_hi_u32 s3, s22, s4
	s_add_i32 s3, s3, s2
	s_mul_i32 s2, s22, s4
	s_lshl_b64 s[2:3], s[2:3], 2
	s_add_u32 s2, s16, s2
	s_mul_i32 s5, s31, s4
	s_mul_hi_u32 s10, s30, s4
	s_addc_u32 s3, s17, s3
	s_add_i32 s5, s10, s5
	s_mul_i32 s4, s30, s4
	s_lshl_b64 s[4:5], s[4:5], 2
	s_add_u32 s4, s6, s4
	s_addc_u32 s5, s15, s5
	v_lshl_add_u64 v[0:1], s[8:9], 0, v[2:3]
	v_lshl_add_u64 v[2:3], s[4:5], 0, v[2:3]
	s_lshl_b32 s4, s0, 4
	s_mov_b64 s[0:1], 0
.LBB3_2:                                ; =>This Inner Loop Header: Depth=1
	v_ashrrev_i32_e32 v5, 31, v4
	v_mul_lo_u32 v10, s13, v4
	v_mad_u64_u32 v[6:7], s[8:9], s12, v4, 0
	v_mul_lo_u32 v12, s12, v5
	v_mul_lo_u32 v11, s21, v4
	v_mad_u64_u32 v[8:9], s[8:9], s20, v4, 0
	v_mul_lo_u32 v13, s20, v5
	v_add3_u32 v7, v7, v12, v10
	v_add3_u32 v9, v9, v13, v11
	v_lshl_add_u64 v[6:7], v[6:7], 2, v[0:1]
	v_lshl_add_u64 v[8:9], v[8:9], 2, s[2:3]
	global_load_dword v10, v[6:7], off
	global_load_dword v11, v[8:9], off
	v_mul_lo_u32 v8, s29, v4
	v_mad_u64_u32 v[6:7], s[8:9], s28, v4, 0
	v_add_u32_e32 v4, s4, v4
	v_mul_lo_u32 v5, s28, v5
	v_cmp_le_i32_e32 vcc, s7, v4
	v_add3_u32 v7, v7, v5, v8
	s_or_b64 s[0:1], vcc, s[0:1]
	v_lshl_add_u64 v[6:7], v[6:7], 2, v[2:3]
	s_waitcnt vmcnt(0)
	v_mul_f32_e32 v5, v10, v11
	global_store_dword v[6:7], v5, off
	s_andn2_b64 exec, exec, s[0:1]
	s_cbranch_execnz .LBB3_2
.LBB3_3:
	s_endpgm
	.section	.rodata,"a",@progbits
	.p2align	6, 0x0
	.amdhsa_kernel _ZL19rocblas_dgmm_kernelILi16ELi16ELb1EPKfPfEviiT2_lllS3_lllT3_llli
		.amdhsa_group_segment_fixed_size 0
		.amdhsa_private_segment_fixed_size 0
		.amdhsa_kernarg_size 368
		.amdhsa_user_sgpr_count 2
		.amdhsa_user_sgpr_dispatch_ptr 0
		.amdhsa_user_sgpr_queue_ptr 0
		.amdhsa_user_sgpr_kernarg_segment_ptr 1
		.amdhsa_user_sgpr_dispatch_id 0
		.amdhsa_user_sgpr_kernarg_preload_length 0
		.amdhsa_user_sgpr_kernarg_preload_offset 0
		.amdhsa_user_sgpr_private_segment_size 0
		.amdhsa_uses_dynamic_stack 0
		.amdhsa_enable_private_segment 0
		.amdhsa_system_sgpr_workgroup_id_x 1
		.amdhsa_system_sgpr_workgroup_id_y 1
		.amdhsa_system_sgpr_workgroup_id_z 1
		.amdhsa_system_sgpr_workgroup_info 0
		.amdhsa_system_vgpr_workitem_id 1
		.amdhsa_next_free_vgpr 14
		.amdhsa_next_free_sgpr 32
		.amdhsa_accum_offset 16
		.amdhsa_reserve_vcc 1
		.amdhsa_float_round_mode_32 0
		.amdhsa_float_round_mode_16_64 0
		.amdhsa_float_denorm_mode_32 3
		.amdhsa_float_denorm_mode_16_64 3
		.amdhsa_dx10_clamp 1
		.amdhsa_ieee_mode 1
		.amdhsa_fp16_overflow 0
		.amdhsa_tg_split 0
		.amdhsa_exception_fp_ieee_invalid_op 0
		.amdhsa_exception_fp_denorm_src 0
		.amdhsa_exception_fp_ieee_div_zero 0
		.amdhsa_exception_fp_ieee_overflow 0
		.amdhsa_exception_fp_ieee_underflow 0
		.amdhsa_exception_fp_ieee_inexact 0
		.amdhsa_exception_int_div_zero 0
	.end_amdhsa_kernel
	.section	.text._ZL19rocblas_dgmm_kernelILi16ELi16ELb1EPKfPfEviiT2_lllS3_lllT3_llli,"axG",@progbits,_ZL19rocblas_dgmm_kernelILi16ELi16ELb1EPKfPfEviiT2_lllS3_lllT3_llli,comdat
.Lfunc_end3:
	.size	_ZL19rocblas_dgmm_kernelILi16ELi16ELb1EPKfPfEviiT2_lllS3_lllT3_llli, .Lfunc_end3-_ZL19rocblas_dgmm_kernelILi16ELi16ELb1EPKfPfEviiT2_lllS3_lllT3_llli
                                        ; -- End function
	.set _ZL19rocblas_dgmm_kernelILi16ELi16ELb1EPKfPfEviiT2_lllS3_lllT3_llli.num_vgpr, 14
	.set _ZL19rocblas_dgmm_kernelILi16ELi16ELb1EPKfPfEviiT2_lllS3_lllT3_llli.num_agpr, 0
	.set _ZL19rocblas_dgmm_kernelILi16ELi16ELb1EPKfPfEviiT2_lllS3_lllT3_llli.numbered_sgpr, 32
	.set _ZL19rocblas_dgmm_kernelILi16ELi16ELb1EPKfPfEviiT2_lllS3_lllT3_llli.num_named_barrier, 0
	.set _ZL19rocblas_dgmm_kernelILi16ELi16ELb1EPKfPfEviiT2_lllS3_lllT3_llli.private_seg_size, 0
	.set _ZL19rocblas_dgmm_kernelILi16ELi16ELb1EPKfPfEviiT2_lllS3_lllT3_llli.uses_vcc, 1
	.set _ZL19rocblas_dgmm_kernelILi16ELi16ELb1EPKfPfEviiT2_lllS3_lllT3_llli.uses_flat_scratch, 0
	.set _ZL19rocblas_dgmm_kernelILi16ELi16ELb1EPKfPfEviiT2_lllS3_lllT3_llli.has_dyn_sized_stack, 0
	.set _ZL19rocblas_dgmm_kernelILi16ELi16ELb1EPKfPfEviiT2_lllS3_lllT3_llli.has_recursion, 0
	.set _ZL19rocblas_dgmm_kernelILi16ELi16ELb1EPKfPfEviiT2_lllS3_lllT3_llli.has_indirect_call, 0
	.section	.AMDGPU.csdata,"",@progbits
; Kernel info:
; codeLenInByte = 432
; TotalNumSgprs: 38
; NumVgprs: 14
; NumAgprs: 0
; TotalNumVgprs: 14
; ScratchSize: 0
; MemoryBound: 0
; FloatMode: 240
; IeeeMode: 1
; LDSByteSize: 0 bytes/workgroup (compile time only)
; SGPRBlocks: 4
; VGPRBlocks: 1
; NumSGPRsForWavesPerEU: 38
; NumVGPRsForWavesPerEU: 14
; AccumOffset: 16
; Occupancy: 8
; WaveLimiterHint : 0
; COMPUTE_PGM_RSRC2:SCRATCH_EN: 0
; COMPUTE_PGM_RSRC2:USER_SGPR: 2
; COMPUTE_PGM_RSRC2:TRAP_HANDLER: 0
; COMPUTE_PGM_RSRC2:TGID_X_EN: 1
; COMPUTE_PGM_RSRC2:TGID_Y_EN: 1
; COMPUTE_PGM_RSRC2:TGID_Z_EN: 1
; COMPUTE_PGM_RSRC2:TIDIG_COMP_CNT: 1
; COMPUTE_PGM_RSRC3_GFX90A:ACCUM_OFFSET: 3
; COMPUTE_PGM_RSRC3_GFX90A:TG_SPLIT: 0
	.section	.text._ZL26rocblas_dgmm_gfx942_kernelILi32ELi32ELb0EPKdPdEviiT2_lllS3_lllT3_lll,"axG",@progbits,_ZL26rocblas_dgmm_gfx942_kernelILi32ELi32ELb0EPKdPdEviiT2_lllS3_lllT3_lll,comdat
	.globl	_ZL26rocblas_dgmm_gfx942_kernelILi32ELi32ELb0EPKdPdEviiT2_lllS3_lllT3_lll ; -- Begin function _ZL26rocblas_dgmm_gfx942_kernelILi32ELi32ELb0EPKdPdEviiT2_lllS3_lllT3_lll
	.p2align	8
	.type	_ZL26rocblas_dgmm_gfx942_kernelILi32ELi32ELb0EPKdPdEviiT2_lllS3_lllT3_lll,@function
_ZL26rocblas_dgmm_gfx942_kernelILi32ELi32ELb0EPKdPdEviiT2_lllS3_lllT3_lll: ; @_ZL26rocblas_dgmm_gfx942_kernelILi32ELi32ELb0EPKdPdEviiT2_lllS3_lllT3_lll
; %bb.0:
	s_endpgm
	.section	.rodata,"a",@progbits
	.p2align	6, 0x0
	.amdhsa_kernel _ZL26rocblas_dgmm_gfx942_kernelILi32ELi32ELb0EPKdPdEviiT2_lllS3_lllT3_lll
		.amdhsa_group_segment_fixed_size 0
		.amdhsa_private_segment_fixed_size 0
		.amdhsa_kernarg_size 104
		.amdhsa_user_sgpr_count 2
		.amdhsa_user_sgpr_dispatch_ptr 0
		.amdhsa_user_sgpr_queue_ptr 0
		.amdhsa_user_sgpr_kernarg_segment_ptr 1
		.amdhsa_user_sgpr_dispatch_id 0
		.amdhsa_user_sgpr_kernarg_preload_length 0
		.amdhsa_user_sgpr_kernarg_preload_offset 0
		.amdhsa_user_sgpr_private_segment_size 0
		.amdhsa_uses_dynamic_stack 0
		.amdhsa_enable_private_segment 0
		.amdhsa_system_sgpr_workgroup_id_x 1
		.amdhsa_system_sgpr_workgroup_id_y 0
		.amdhsa_system_sgpr_workgroup_id_z 0
		.amdhsa_system_sgpr_workgroup_info 0
		.amdhsa_system_vgpr_workitem_id 0
		.amdhsa_next_free_vgpr 1
		.amdhsa_next_free_sgpr 0
		.amdhsa_accum_offset 4
		.amdhsa_reserve_vcc 0
		.amdhsa_float_round_mode_32 0
		.amdhsa_float_round_mode_16_64 0
		.amdhsa_float_denorm_mode_32 3
		.amdhsa_float_denorm_mode_16_64 3
		.amdhsa_dx10_clamp 1
		.amdhsa_ieee_mode 1
		.amdhsa_fp16_overflow 0
		.amdhsa_tg_split 0
		.amdhsa_exception_fp_ieee_invalid_op 0
		.amdhsa_exception_fp_denorm_src 0
		.amdhsa_exception_fp_ieee_div_zero 0
		.amdhsa_exception_fp_ieee_overflow 0
		.amdhsa_exception_fp_ieee_underflow 0
		.amdhsa_exception_fp_ieee_inexact 0
		.amdhsa_exception_int_div_zero 0
	.end_amdhsa_kernel
	.section	.text._ZL26rocblas_dgmm_gfx942_kernelILi32ELi32ELb0EPKdPdEviiT2_lllS3_lllT3_lll,"axG",@progbits,_ZL26rocblas_dgmm_gfx942_kernelILi32ELi32ELb0EPKdPdEviiT2_lllS3_lllT3_lll,comdat
.Lfunc_end4:
	.size	_ZL26rocblas_dgmm_gfx942_kernelILi32ELi32ELb0EPKdPdEviiT2_lllS3_lllT3_lll, .Lfunc_end4-_ZL26rocblas_dgmm_gfx942_kernelILi32ELi32ELb0EPKdPdEviiT2_lllS3_lllT3_lll
                                        ; -- End function
	.set _ZL26rocblas_dgmm_gfx942_kernelILi32ELi32ELb0EPKdPdEviiT2_lllS3_lllT3_lll.num_vgpr, 0
	.set _ZL26rocblas_dgmm_gfx942_kernelILi32ELi32ELb0EPKdPdEviiT2_lllS3_lllT3_lll.num_agpr, 0
	.set _ZL26rocblas_dgmm_gfx942_kernelILi32ELi32ELb0EPKdPdEviiT2_lllS3_lllT3_lll.numbered_sgpr, 0
	.set _ZL26rocblas_dgmm_gfx942_kernelILi32ELi32ELb0EPKdPdEviiT2_lllS3_lllT3_lll.num_named_barrier, 0
	.set _ZL26rocblas_dgmm_gfx942_kernelILi32ELi32ELb0EPKdPdEviiT2_lllS3_lllT3_lll.private_seg_size, 0
	.set _ZL26rocblas_dgmm_gfx942_kernelILi32ELi32ELb0EPKdPdEviiT2_lllS3_lllT3_lll.uses_vcc, 0
	.set _ZL26rocblas_dgmm_gfx942_kernelILi32ELi32ELb0EPKdPdEviiT2_lllS3_lllT3_lll.uses_flat_scratch, 0
	.set _ZL26rocblas_dgmm_gfx942_kernelILi32ELi32ELb0EPKdPdEviiT2_lllS3_lllT3_lll.has_dyn_sized_stack, 0
	.set _ZL26rocblas_dgmm_gfx942_kernelILi32ELi32ELb0EPKdPdEviiT2_lllS3_lllT3_lll.has_recursion, 0
	.set _ZL26rocblas_dgmm_gfx942_kernelILi32ELi32ELb0EPKdPdEviiT2_lllS3_lllT3_lll.has_indirect_call, 0
	.section	.AMDGPU.csdata,"",@progbits
; Kernel info:
; codeLenInByte = 4
; TotalNumSgprs: 6
; NumVgprs: 0
; NumAgprs: 0
; TotalNumVgprs: 0
; ScratchSize: 0
; MemoryBound: 0
; FloatMode: 240
; IeeeMode: 1
; LDSByteSize: 0 bytes/workgroup (compile time only)
; SGPRBlocks: 0
; VGPRBlocks: 0
; NumSGPRsForWavesPerEU: 6
; NumVGPRsForWavesPerEU: 1
; AccumOffset: 4
; Occupancy: 8
; WaveLimiterHint : 0
; COMPUTE_PGM_RSRC2:SCRATCH_EN: 0
; COMPUTE_PGM_RSRC2:USER_SGPR: 2
; COMPUTE_PGM_RSRC2:TRAP_HANDLER: 0
; COMPUTE_PGM_RSRC2:TGID_X_EN: 1
; COMPUTE_PGM_RSRC2:TGID_Y_EN: 0
; COMPUTE_PGM_RSRC2:TGID_Z_EN: 0
; COMPUTE_PGM_RSRC2:TIDIG_COMP_CNT: 0
; COMPUTE_PGM_RSRC3_GFX90A:ACCUM_OFFSET: 0
; COMPUTE_PGM_RSRC3_GFX90A:TG_SPLIT: 0
	.section	.text._ZL19rocblas_dgmm_kernelILi16ELi16ELb0EPKdPdEviiT2_lllS3_lllT3_llli,"axG",@progbits,_ZL19rocblas_dgmm_kernelILi16ELi16ELb0EPKdPdEviiT2_lllS3_lllT3_llli,comdat
	.globl	_ZL19rocblas_dgmm_kernelILi16ELi16ELb0EPKdPdEviiT2_lllS3_lllT3_llli ; -- Begin function _ZL19rocblas_dgmm_kernelILi16ELi16ELb0EPKdPdEviiT2_lllS3_lllT3_llli
	.p2align	8
	.type	_ZL19rocblas_dgmm_kernelILi16ELi16ELb0EPKdPdEviiT2_lllS3_lllT3_llli,@function
_ZL19rocblas_dgmm_kernelILi16ELi16ELb0EPKdPdEviiT2_lllS3_lllT3_llli: ; @_ZL19rocblas_dgmm_kernelILi16ELi16ELb0EPKdPdEviiT2_lllS3_lllT3_llli
; %bb.0:
	s_load_dwordx2 s[6:7], s[0:1], 0x0
	v_and_b32_e32 v1, 0x3ff, v0
	v_bfe_u32 v0, v0, 10, 10
	v_lshl_add_u32 v2, s2, 4, v1
	v_lshl_add_u32 v6, s3, 4, v0
	s_waitcnt lgkmcnt(0)
	v_cmp_gt_i32_e32 vcc, s6, v2
	v_cmp_gt_i32_e64 s[2:3], s7, v6
	s_and_b64 s[2:3], vcc, s[2:3]
	s_and_saveexec_b64 s[8:9], s[2:3]
	s_cbranch_execz .LBB5_3
; %bb.1:
	s_load_dwordx8 s[24:31], s[0:1], 0x48
	s_load_dwordx16 s[8:23], s[0:1], 0x8
	v_ashrrev_i32_e32 v3, 31, v2
	v_lshlrev_b64 v[4:5], 3, v[2:3]
	s_waitcnt lgkmcnt(0)
	s_lshl_b64 s[2:3], s[26:27], 3
	s_add_u32 s6, s24, s2
	s_mul_i32 s5, s15, s4
	s_addc_u32 s15, s25, s3
	s_lshl_b64 s[2:3], s[18:19], 3
	s_add_u32 s16, s16, s2
	s_addc_u32 s17, s17, s3
	s_lshl_b64 s[2:3], s[10:11], 3
	s_add_u32 s8, s8, s2
	s_mul_hi_u32 s2, s14, s4
	s_addc_u32 s9, s9, s3
	s_add_i32 s3, s2, s5
	s_mul_i32 s2, s14, s4
	s_lshl_b64 s[2:3], s[2:3], 3
	s_add_u32 s2, s8, s2
	s_mul_i32 s5, s23, s4
	s_mul_hi_u32 s8, s22, s4
	s_addc_u32 s3, s9, s3
	s_add_i32 s9, s8, s5
	s_mul_i32 s8, s22, s4
	s_lshl_b64 s[8:9], s[8:9], 3
	s_add_u32 s8, s16, s8
	s_mul_i32 s5, s31, s4
	s_mul_hi_u32 s10, s30, s4
	v_lshl_add_u64 v[0:1], s[2:3], 0, v[4:5]
	s_load_dword s2, s[0:1], 0x74
	s_addc_u32 s9, s17, s9
	s_add_i32 s5, s10, s5
	s_mul_i32 s4, s30, s4
	s_lshl_b64 s[4:5], s[4:5], 3
	s_add_u32 s4, s6, s4
	v_mul_lo_u32 v7, s21, v2
	v_mul_lo_u32 v8, s20, v3
	v_mad_u64_u32 v[2:3], s[0:1], s20, v2, 0
	s_addc_u32 s5, s15, s5
	v_add3_u32 v3, v3, v8, v7
	v_lshl_add_u64 v[2:3], v[2:3], 3, s[8:9]
	v_lshl_add_u64 v[4:5], s[4:5], 0, v[4:5]
	s_waitcnt lgkmcnt(0)
	s_lshl_b32 s2, s2, 4
	s_mov_b64 s[0:1], 0
.LBB5_2:                                ; =>This Inner Loop Header: Depth=1
	v_ashrrev_i32_e32 v7, 31, v6
	v_mul_lo_u32 v12, s13, v6
	v_mad_u64_u32 v[8:9], s[4:5], s12, v6, 0
	v_mul_lo_u32 v13, s12, v7
	v_add3_u32 v9, v9, v13, v12
	v_lshl_add_u64 v[8:9], v[8:9], 3, v[0:1]
	global_load_dwordx2 v[10:11], v[2:3], off
	v_mul_lo_u32 v14, s29, v6
	global_load_dwordx2 v[8:9], v[8:9], off
	v_mad_u64_u32 v[12:13], s[4:5], s28, v6, 0
	v_add_u32_e32 v6, s2, v6
	v_mul_lo_u32 v7, s28, v7
	v_cmp_le_i32_e32 vcc, s7, v6
	v_add3_u32 v13, v13, v7, v14
	s_or_b64 s[0:1], vcc, s[0:1]
	v_lshl_add_u64 v[12:13], v[12:13], 3, v[4:5]
	s_waitcnt vmcnt(0)
	v_mul_f64 v[8:9], v[8:9], v[10:11]
	global_store_dwordx2 v[12:13], v[8:9], off
	s_andn2_b64 exec, exec, s[0:1]
	s_cbranch_execnz .LBB5_2
.LBB5_3:
	s_endpgm
	.section	.rodata,"a",@progbits
	.p2align	6, 0x0
	.amdhsa_kernel _ZL19rocblas_dgmm_kernelILi16ELi16ELb0EPKdPdEviiT2_lllS3_lllT3_llli
		.amdhsa_group_segment_fixed_size 0
		.amdhsa_private_segment_fixed_size 0
		.amdhsa_kernarg_size 368
		.amdhsa_user_sgpr_count 2
		.amdhsa_user_sgpr_dispatch_ptr 0
		.amdhsa_user_sgpr_queue_ptr 0
		.amdhsa_user_sgpr_kernarg_segment_ptr 1
		.amdhsa_user_sgpr_dispatch_id 0
		.amdhsa_user_sgpr_kernarg_preload_length 0
		.amdhsa_user_sgpr_kernarg_preload_offset 0
		.amdhsa_user_sgpr_private_segment_size 0
		.amdhsa_uses_dynamic_stack 0
		.amdhsa_enable_private_segment 0
		.amdhsa_system_sgpr_workgroup_id_x 1
		.amdhsa_system_sgpr_workgroup_id_y 1
		.amdhsa_system_sgpr_workgroup_id_z 1
		.amdhsa_system_sgpr_workgroup_info 0
		.amdhsa_system_vgpr_workitem_id 1
		.amdhsa_next_free_vgpr 15
		.amdhsa_next_free_sgpr 32
		.amdhsa_accum_offset 16
		.amdhsa_reserve_vcc 1
		.amdhsa_float_round_mode_32 0
		.amdhsa_float_round_mode_16_64 0
		.amdhsa_float_denorm_mode_32 3
		.amdhsa_float_denorm_mode_16_64 3
		.amdhsa_dx10_clamp 1
		.amdhsa_ieee_mode 1
		.amdhsa_fp16_overflow 0
		.amdhsa_tg_split 0
		.amdhsa_exception_fp_ieee_invalid_op 0
		.amdhsa_exception_fp_denorm_src 0
		.amdhsa_exception_fp_ieee_div_zero 0
		.amdhsa_exception_fp_ieee_overflow 0
		.amdhsa_exception_fp_ieee_underflow 0
		.amdhsa_exception_fp_ieee_inexact 0
		.amdhsa_exception_int_div_zero 0
	.end_amdhsa_kernel
	.section	.text._ZL19rocblas_dgmm_kernelILi16ELi16ELb0EPKdPdEviiT2_lllS3_lllT3_llli,"axG",@progbits,_ZL19rocblas_dgmm_kernelILi16ELi16ELb0EPKdPdEviiT2_lllS3_lllT3_llli,comdat
.Lfunc_end5:
	.size	_ZL19rocblas_dgmm_kernelILi16ELi16ELb0EPKdPdEviiT2_lllS3_lllT3_llli, .Lfunc_end5-_ZL19rocblas_dgmm_kernelILi16ELi16ELb0EPKdPdEviiT2_lllS3_lllT3_llli
                                        ; -- End function
	.set _ZL19rocblas_dgmm_kernelILi16ELi16ELb0EPKdPdEviiT2_lllS3_lllT3_llli.num_vgpr, 15
	.set _ZL19rocblas_dgmm_kernelILi16ELi16ELb0EPKdPdEviiT2_lllS3_lllT3_llli.num_agpr, 0
	.set _ZL19rocblas_dgmm_kernelILi16ELi16ELb0EPKdPdEviiT2_lllS3_lllT3_llli.numbered_sgpr, 32
	.set _ZL19rocblas_dgmm_kernelILi16ELi16ELb0EPKdPdEviiT2_lllS3_lllT3_llli.num_named_barrier, 0
	.set _ZL19rocblas_dgmm_kernelILi16ELi16ELb0EPKdPdEviiT2_lllS3_lllT3_llli.private_seg_size, 0
	.set _ZL19rocblas_dgmm_kernelILi16ELi16ELb0EPKdPdEviiT2_lllS3_lllT3_llli.uses_vcc, 1
	.set _ZL19rocblas_dgmm_kernelILi16ELi16ELb0EPKdPdEviiT2_lllS3_lllT3_llli.uses_flat_scratch, 0
	.set _ZL19rocblas_dgmm_kernelILi16ELi16ELb0EPKdPdEviiT2_lllS3_lllT3_llli.has_dyn_sized_stack, 0
	.set _ZL19rocblas_dgmm_kernelILi16ELi16ELb0EPKdPdEviiT2_lllS3_lllT3_llli.has_recursion, 0
	.set _ZL19rocblas_dgmm_kernelILi16ELi16ELb0EPKdPdEviiT2_lllS3_lllT3_llli.has_indirect_call, 0
	.section	.AMDGPU.csdata,"",@progbits
; Kernel info:
; codeLenInByte = 440
; TotalNumSgprs: 38
; NumVgprs: 15
; NumAgprs: 0
; TotalNumVgprs: 15
; ScratchSize: 0
; MemoryBound: 0
; FloatMode: 240
; IeeeMode: 1
; LDSByteSize: 0 bytes/workgroup (compile time only)
; SGPRBlocks: 4
; VGPRBlocks: 1
; NumSGPRsForWavesPerEU: 38
; NumVGPRsForWavesPerEU: 15
; AccumOffset: 16
; Occupancy: 8
; WaveLimiterHint : 0
; COMPUTE_PGM_RSRC2:SCRATCH_EN: 0
; COMPUTE_PGM_RSRC2:USER_SGPR: 2
; COMPUTE_PGM_RSRC2:TRAP_HANDLER: 0
; COMPUTE_PGM_RSRC2:TGID_X_EN: 1
; COMPUTE_PGM_RSRC2:TGID_Y_EN: 1
; COMPUTE_PGM_RSRC2:TGID_Z_EN: 1
; COMPUTE_PGM_RSRC2:TIDIG_COMP_CNT: 1
; COMPUTE_PGM_RSRC3_GFX90A:ACCUM_OFFSET: 3
; COMPUTE_PGM_RSRC3_GFX90A:TG_SPLIT: 0
	.section	.text._ZL26rocblas_dgmm_gfx942_kernelILi32ELi32ELb1EPKdPdEviiT2_lllS3_lllT3_lll,"axG",@progbits,_ZL26rocblas_dgmm_gfx942_kernelILi32ELi32ELb1EPKdPdEviiT2_lllS3_lllT3_lll,comdat
	.globl	_ZL26rocblas_dgmm_gfx942_kernelILi32ELi32ELb1EPKdPdEviiT2_lllS3_lllT3_lll ; -- Begin function _ZL26rocblas_dgmm_gfx942_kernelILi32ELi32ELb1EPKdPdEviiT2_lllS3_lllT3_lll
	.p2align	8
	.type	_ZL26rocblas_dgmm_gfx942_kernelILi32ELi32ELb1EPKdPdEviiT2_lllS3_lllT3_lll,@function
_ZL26rocblas_dgmm_gfx942_kernelILi32ELi32ELb1EPKdPdEviiT2_lllS3_lllT3_lll: ; @_ZL26rocblas_dgmm_gfx942_kernelILi32ELi32ELb1EPKdPdEviiT2_lllS3_lllT3_lll
; %bb.0:
	s_endpgm
	.section	.rodata,"a",@progbits
	.p2align	6, 0x0
	.amdhsa_kernel _ZL26rocblas_dgmm_gfx942_kernelILi32ELi32ELb1EPKdPdEviiT2_lllS3_lllT3_lll
		.amdhsa_group_segment_fixed_size 0
		.amdhsa_private_segment_fixed_size 0
		.amdhsa_kernarg_size 104
		.amdhsa_user_sgpr_count 2
		.amdhsa_user_sgpr_dispatch_ptr 0
		.amdhsa_user_sgpr_queue_ptr 0
		.amdhsa_user_sgpr_kernarg_segment_ptr 1
		.amdhsa_user_sgpr_dispatch_id 0
		.amdhsa_user_sgpr_kernarg_preload_length 0
		.amdhsa_user_sgpr_kernarg_preload_offset 0
		.amdhsa_user_sgpr_private_segment_size 0
		.amdhsa_uses_dynamic_stack 0
		.amdhsa_enable_private_segment 0
		.amdhsa_system_sgpr_workgroup_id_x 1
		.amdhsa_system_sgpr_workgroup_id_y 0
		.amdhsa_system_sgpr_workgroup_id_z 0
		.amdhsa_system_sgpr_workgroup_info 0
		.amdhsa_system_vgpr_workitem_id 0
		.amdhsa_next_free_vgpr 1
		.amdhsa_next_free_sgpr 0
		.amdhsa_accum_offset 4
		.amdhsa_reserve_vcc 0
		.amdhsa_float_round_mode_32 0
		.amdhsa_float_round_mode_16_64 0
		.amdhsa_float_denorm_mode_32 3
		.amdhsa_float_denorm_mode_16_64 3
		.amdhsa_dx10_clamp 1
		.amdhsa_ieee_mode 1
		.amdhsa_fp16_overflow 0
		.amdhsa_tg_split 0
		.amdhsa_exception_fp_ieee_invalid_op 0
		.amdhsa_exception_fp_denorm_src 0
		.amdhsa_exception_fp_ieee_div_zero 0
		.amdhsa_exception_fp_ieee_overflow 0
		.amdhsa_exception_fp_ieee_underflow 0
		.amdhsa_exception_fp_ieee_inexact 0
		.amdhsa_exception_int_div_zero 0
	.end_amdhsa_kernel
	.section	.text._ZL26rocblas_dgmm_gfx942_kernelILi32ELi32ELb1EPKdPdEviiT2_lllS3_lllT3_lll,"axG",@progbits,_ZL26rocblas_dgmm_gfx942_kernelILi32ELi32ELb1EPKdPdEviiT2_lllS3_lllT3_lll,comdat
.Lfunc_end6:
	.size	_ZL26rocblas_dgmm_gfx942_kernelILi32ELi32ELb1EPKdPdEviiT2_lllS3_lllT3_lll, .Lfunc_end6-_ZL26rocblas_dgmm_gfx942_kernelILi32ELi32ELb1EPKdPdEviiT2_lllS3_lllT3_lll
                                        ; -- End function
	.set _ZL26rocblas_dgmm_gfx942_kernelILi32ELi32ELb1EPKdPdEviiT2_lllS3_lllT3_lll.num_vgpr, 0
	.set _ZL26rocblas_dgmm_gfx942_kernelILi32ELi32ELb1EPKdPdEviiT2_lllS3_lllT3_lll.num_agpr, 0
	.set _ZL26rocblas_dgmm_gfx942_kernelILi32ELi32ELb1EPKdPdEviiT2_lllS3_lllT3_lll.numbered_sgpr, 0
	.set _ZL26rocblas_dgmm_gfx942_kernelILi32ELi32ELb1EPKdPdEviiT2_lllS3_lllT3_lll.num_named_barrier, 0
	.set _ZL26rocblas_dgmm_gfx942_kernelILi32ELi32ELb1EPKdPdEviiT2_lllS3_lllT3_lll.private_seg_size, 0
	.set _ZL26rocblas_dgmm_gfx942_kernelILi32ELi32ELb1EPKdPdEviiT2_lllS3_lllT3_lll.uses_vcc, 0
	.set _ZL26rocblas_dgmm_gfx942_kernelILi32ELi32ELb1EPKdPdEviiT2_lllS3_lllT3_lll.uses_flat_scratch, 0
	.set _ZL26rocblas_dgmm_gfx942_kernelILi32ELi32ELb1EPKdPdEviiT2_lllS3_lllT3_lll.has_dyn_sized_stack, 0
	.set _ZL26rocblas_dgmm_gfx942_kernelILi32ELi32ELb1EPKdPdEviiT2_lllS3_lllT3_lll.has_recursion, 0
	.set _ZL26rocblas_dgmm_gfx942_kernelILi32ELi32ELb1EPKdPdEviiT2_lllS3_lllT3_lll.has_indirect_call, 0
	.section	.AMDGPU.csdata,"",@progbits
; Kernel info:
; codeLenInByte = 4
; TotalNumSgprs: 6
; NumVgprs: 0
; NumAgprs: 0
; TotalNumVgprs: 0
; ScratchSize: 0
; MemoryBound: 0
; FloatMode: 240
; IeeeMode: 1
; LDSByteSize: 0 bytes/workgroup (compile time only)
; SGPRBlocks: 0
; VGPRBlocks: 0
; NumSGPRsForWavesPerEU: 6
; NumVGPRsForWavesPerEU: 1
; AccumOffset: 4
; Occupancy: 8
; WaveLimiterHint : 0
; COMPUTE_PGM_RSRC2:SCRATCH_EN: 0
; COMPUTE_PGM_RSRC2:USER_SGPR: 2
; COMPUTE_PGM_RSRC2:TRAP_HANDLER: 0
; COMPUTE_PGM_RSRC2:TGID_X_EN: 1
; COMPUTE_PGM_RSRC2:TGID_Y_EN: 0
; COMPUTE_PGM_RSRC2:TGID_Z_EN: 0
; COMPUTE_PGM_RSRC2:TIDIG_COMP_CNT: 0
; COMPUTE_PGM_RSRC3_GFX90A:ACCUM_OFFSET: 0
; COMPUTE_PGM_RSRC3_GFX90A:TG_SPLIT: 0
	.section	.text._ZL19rocblas_dgmm_kernelILi16ELi16ELb1EPKdPdEviiT2_lllS3_lllT3_llli,"axG",@progbits,_ZL19rocblas_dgmm_kernelILi16ELi16ELb1EPKdPdEviiT2_lllS3_lllT3_llli,comdat
	.globl	_ZL19rocblas_dgmm_kernelILi16ELi16ELb1EPKdPdEviiT2_lllS3_lllT3_llli ; -- Begin function _ZL19rocblas_dgmm_kernelILi16ELi16ELb1EPKdPdEviiT2_lllS3_lllT3_llli
	.p2align	8
	.type	_ZL19rocblas_dgmm_kernelILi16ELi16ELb1EPKdPdEviiT2_lllS3_lllT3_llli,@function
_ZL19rocblas_dgmm_kernelILi16ELi16ELb1EPKdPdEviiT2_lllS3_lllT3_llli: ; @_ZL19rocblas_dgmm_kernelILi16ELi16ELb1EPKdPdEviiT2_lllS3_lllT3_llli
; %bb.0:
	s_load_dwordx2 s[6:7], s[0:1], 0x0
	v_and_b32_e32 v1, 0x3ff, v0
	v_bfe_u32 v0, v0, 10, 10
	v_lshl_add_u32 v2, s2, 4, v1
	v_lshl_add_u32 v4, s3, 4, v0
	s_waitcnt lgkmcnt(0)
	v_cmp_gt_i32_e32 vcc, s6, v2
	v_cmp_gt_i32_e64 s[2:3], s7, v4
	s_and_b64 s[2:3], vcc, s[2:3]
	s_and_saveexec_b64 s[8:9], s[2:3]
	s_cbranch_execz .LBB7_3
; %bb.1:
	s_load_dwordx8 s[24:31], s[0:1], 0x48
	s_load_dwordx16 s[8:23], s[0:1], 0x8
	v_ashrrev_i32_e32 v3, 31, v2
	s_load_dword s0, s[0:1], 0x74
	v_lshlrev_b64 v[2:3], 3, v[2:3]
	s_waitcnt lgkmcnt(0)
	s_lshl_b64 s[2:3], s[26:27], 3
	s_add_u32 s6, s24, s2
	s_mul_i32 s5, s15, s4
	s_addc_u32 s15, s25, s3
	s_lshl_b64 s[2:3], s[18:19], 3
	s_add_u32 s16, s16, s2
	s_addc_u32 s17, s17, s3
	s_lshl_b64 s[2:3], s[10:11], 3
	s_add_u32 s8, s8, s2
	s_mul_hi_u32 s2, s14, s4
	s_addc_u32 s9, s9, s3
	s_add_i32 s3, s2, s5
	s_mul_i32 s2, s14, s4
	s_lshl_b64 s[2:3], s[2:3], 3
	s_add_u32 s8, s8, s2
	s_addc_u32 s9, s9, s3
	s_mul_i32 s2, s23, s4
	s_mul_hi_u32 s3, s22, s4
	s_add_i32 s3, s3, s2
	s_mul_i32 s2, s22, s4
	s_lshl_b64 s[2:3], s[2:3], 3
	s_add_u32 s2, s16, s2
	s_mul_i32 s5, s31, s4
	s_mul_hi_u32 s10, s30, s4
	s_addc_u32 s3, s17, s3
	s_add_i32 s5, s10, s5
	s_mul_i32 s4, s30, s4
	s_lshl_b64 s[4:5], s[4:5], 3
	s_add_u32 s4, s6, s4
	s_addc_u32 s5, s15, s5
	v_lshl_add_u64 v[0:1], s[8:9], 0, v[2:3]
	v_lshl_add_u64 v[2:3], s[4:5], 0, v[2:3]
	s_lshl_b32 s4, s0, 4
	s_mov_b64 s[0:1], 0
.LBB7_2:                                ; =>This Inner Loop Header: Depth=1
	v_ashrrev_i32_e32 v5, 31, v4
	v_mul_lo_u32 v10, s13, v4
	v_mad_u64_u32 v[6:7], s[8:9], s12, v4, 0
	v_mul_lo_u32 v12, s12, v5
	v_mul_lo_u32 v11, s21, v4
	v_mad_u64_u32 v[8:9], s[8:9], s20, v4, 0
	v_mul_lo_u32 v13, s20, v5
	v_add3_u32 v7, v7, v12, v10
	v_add3_u32 v9, v9, v13, v11
	v_lshl_add_u64 v[6:7], v[6:7], 3, v[0:1]
	v_lshl_add_u64 v[8:9], v[8:9], 3, s[2:3]
	global_load_dwordx2 v[10:11], v[6:7], off
	global_load_dwordx2 v[12:13], v[8:9], off
	v_mul_lo_u32 v8, s29, v4
	v_mad_u64_u32 v[6:7], s[8:9], s28, v4, 0
	v_add_u32_e32 v4, s4, v4
	v_mul_lo_u32 v5, s28, v5
	v_cmp_le_i32_e32 vcc, s7, v4
	v_add3_u32 v7, v7, v5, v8
	s_or_b64 s[0:1], vcc, s[0:1]
	v_lshl_add_u64 v[6:7], v[6:7], 3, v[2:3]
	s_waitcnt vmcnt(0)
	v_mul_f64 v[8:9], v[10:11], v[12:13]
	global_store_dwordx2 v[6:7], v[8:9], off
	s_andn2_b64 exec, exec, s[0:1]
	s_cbranch_execnz .LBB7_2
.LBB7_3:
	s_endpgm
	.section	.rodata,"a",@progbits
	.p2align	6, 0x0
	.amdhsa_kernel _ZL19rocblas_dgmm_kernelILi16ELi16ELb1EPKdPdEviiT2_lllS3_lllT3_llli
		.amdhsa_group_segment_fixed_size 0
		.amdhsa_private_segment_fixed_size 0
		.amdhsa_kernarg_size 368
		.amdhsa_user_sgpr_count 2
		.amdhsa_user_sgpr_dispatch_ptr 0
		.amdhsa_user_sgpr_queue_ptr 0
		.amdhsa_user_sgpr_kernarg_segment_ptr 1
		.amdhsa_user_sgpr_dispatch_id 0
		.amdhsa_user_sgpr_kernarg_preload_length 0
		.amdhsa_user_sgpr_kernarg_preload_offset 0
		.amdhsa_user_sgpr_private_segment_size 0
		.amdhsa_uses_dynamic_stack 0
		.amdhsa_enable_private_segment 0
		.amdhsa_system_sgpr_workgroup_id_x 1
		.amdhsa_system_sgpr_workgroup_id_y 1
		.amdhsa_system_sgpr_workgroup_id_z 1
		.amdhsa_system_sgpr_workgroup_info 0
		.amdhsa_system_vgpr_workitem_id 1
		.amdhsa_next_free_vgpr 14
		.amdhsa_next_free_sgpr 32
		.amdhsa_accum_offset 16
		.amdhsa_reserve_vcc 1
		.amdhsa_float_round_mode_32 0
		.amdhsa_float_round_mode_16_64 0
		.amdhsa_float_denorm_mode_32 3
		.amdhsa_float_denorm_mode_16_64 3
		.amdhsa_dx10_clamp 1
		.amdhsa_ieee_mode 1
		.amdhsa_fp16_overflow 0
		.amdhsa_tg_split 0
		.amdhsa_exception_fp_ieee_invalid_op 0
		.amdhsa_exception_fp_denorm_src 0
		.amdhsa_exception_fp_ieee_div_zero 0
		.amdhsa_exception_fp_ieee_overflow 0
		.amdhsa_exception_fp_ieee_underflow 0
		.amdhsa_exception_fp_ieee_inexact 0
		.amdhsa_exception_int_div_zero 0
	.end_amdhsa_kernel
	.section	.text._ZL19rocblas_dgmm_kernelILi16ELi16ELb1EPKdPdEviiT2_lllS3_lllT3_llli,"axG",@progbits,_ZL19rocblas_dgmm_kernelILi16ELi16ELb1EPKdPdEviiT2_lllS3_lllT3_llli,comdat
.Lfunc_end7:
	.size	_ZL19rocblas_dgmm_kernelILi16ELi16ELb1EPKdPdEviiT2_lllS3_lllT3_llli, .Lfunc_end7-_ZL19rocblas_dgmm_kernelILi16ELi16ELb1EPKdPdEviiT2_lllS3_lllT3_llli
                                        ; -- End function
	.set _ZL19rocblas_dgmm_kernelILi16ELi16ELb1EPKdPdEviiT2_lllS3_lllT3_llli.num_vgpr, 14
	.set _ZL19rocblas_dgmm_kernelILi16ELi16ELb1EPKdPdEviiT2_lllS3_lllT3_llli.num_agpr, 0
	.set _ZL19rocblas_dgmm_kernelILi16ELi16ELb1EPKdPdEviiT2_lllS3_lllT3_llli.numbered_sgpr, 32
	.set _ZL19rocblas_dgmm_kernelILi16ELi16ELb1EPKdPdEviiT2_lllS3_lllT3_llli.num_named_barrier, 0
	.set _ZL19rocblas_dgmm_kernelILi16ELi16ELb1EPKdPdEviiT2_lllS3_lllT3_llli.private_seg_size, 0
	.set _ZL19rocblas_dgmm_kernelILi16ELi16ELb1EPKdPdEviiT2_lllS3_lllT3_llli.uses_vcc, 1
	.set _ZL19rocblas_dgmm_kernelILi16ELi16ELb1EPKdPdEviiT2_lllS3_lllT3_llli.uses_flat_scratch, 0
	.set _ZL19rocblas_dgmm_kernelILi16ELi16ELb1EPKdPdEviiT2_lllS3_lllT3_llli.has_dyn_sized_stack, 0
	.set _ZL19rocblas_dgmm_kernelILi16ELi16ELb1EPKdPdEviiT2_lllS3_lllT3_llli.has_recursion, 0
	.set _ZL19rocblas_dgmm_kernelILi16ELi16ELb1EPKdPdEviiT2_lllS3_lllT3_llli.has_indirect_call, 0
	.section	.AMDGPU.csdata,"",@progbits
; Kernel info:
; codeLenInByte = 436
; TotalNumSgprs: 38
; NumVgprs: 14
; NumAgprs: 0
; TotalNumVgprs: 14
; ScratchSize: 0
; MemoryBound: 0
; FloatMode: 240
; IeeeMode: 1
; LDSByteSize: 0 bytes/workgroup (compile time only)
; SGPRBlocks: 4
; VGPRBlocks: 1
; NumSGPRsForWavesPerEU: 38
; NumVGPRsForWavesPerEU: 14
; AccumOffset: 16
; Occupancy: 8
; WaveLimiterHint : 0
; COMPUTE_PGM_RSRC2:SCRATCH_EN: 0
; COMPUTE_PGM_RSRC2:USER_SGPR: 2
; COMPUTE_PGM_RSRC2:TRAP_HANDLER: 0
; COMPUTE_PGM_RSRC2:TGID_X_EN: 1
; COMPUTE_PGM_RSRC2:TGID_Y_EN: 1
; COMPUTE_PGM_RSRC2:TGID_Z_EN: 1
; COMPUTE_PGM_RSRC2:TIDIG_COMP_CNT: 1
; COMPUTE_PGM_RSRC3_GFX90A:ACCUM_OFFSET: 3
; COMPUTE_PGM_RSRC3_GFX90A:TG_SPLIT: 0
	.section	.text._ZL26rocblas_dgmm_gfx942_kernelILi32ELi32ELb0EPK19rocblas_complex_numIfEPS1_EviiT2_lllS5_lllT3_lll,"axG",@progbits,_ZL26rocblas_dgmm_gfx942_kernelILi32ELi32ELb0EPK19rocblas_complex_numIfEPS1_EviiT2_lllS5_lllT3_lll,comdat
	.globl	_ZL26rocblas_dgmm_gfx942_kernelILi32ELi32ELb0EPK19rocblas_complex_numIfEPS1_EviiT2_lllS5_lllT3_lll ; -- Begin function _ZL26rocblas_dgmm_gfx942_kernelILi32ELi32ELb0EPK19rocblas_complex_numIfEPS1_EviiT2_lllS5_lllT3_lll
	.p2align	8
	.type	_ZL26rocblas_dgmm_gfx942_kernelILi32ELi32ELb0EPK19rocblas_complex_numIfEPS1_EviiT2_lllS5_lllT3_lll,@function
_ZL26rocblas_dgmm_gfx942_kernelILi32ELi32ELb0EPK19rocblas_complex_numIfEPS1_EviiT2_lllS5_lllT3_lll: ; @_ZL26rocblas_dgmm_gfx942_kernelILi32ELi32ELb0EPK19rocblas_complex_numIfEPS1_EviiT2_lllS5_lllT3_lll
; %bb.0:
	s_endpgm
	.section	.rodata,"a",@progbits
	.p2align	6, 0x0
	.amdhsa_kernel _ZL26rocblas_dgmm_gfx942_kernelILi32ELi32ELb0EPK19rocblas_complex_numIfEPS1_EviiT2_lllS5_lllT3_lll
		.amdhsa_group_segment_fixed_size 0
		.amdhsa_private_segment_fixed_size 0
		.amdhsa_kernarg_size 104
		.amdhsa_user_sgpr_count 2
		.amdhsa_user_sgpr_dispatch_ptr 0
		.amdhsa_user_sgpr_queue_ptr 0
		.amdhsa_user_sgpr_kernarg_segment_ptr 1
		.amdhsa_user_sgpr_dispatch_id 0
		.amdhsa_user_sgpr_kernarg_preload_length 0
		.amdhsa_user_sgpr_kernarg_preload_offset 0
		.amdhsa_user_sgpr_private_segment_size 0
		.amdhsa_uses_dynamic_stack 0
		.amdhsa_enable_private_segment 0
		.amdhsa_system_sgpr_workgroup_id_x 1
		.amdhsa_system_sgpr_workgroup_id_y 0
		.amdhsa_system_sgpr_workgroup_id_z 0
		.amdhsa_system_sgpr_workgroup_info 0
		.amdhsa_system_vgpr_workitem_id 0
		.amdhsa_next_free_vgpr 1
		.amdhsa_next_free_sgpr 0
		.amdhsa_accum_offset 4
		.amdhsa_reserve_vcc 0
		.amdhsa_float_round_mode_32 0
		.amdhsa_float_round_mode_16_64 0
		.amdhsa_float_denorm_mode_32 3
		.amdhsa_float_denorm_mode_16_64 3
		.amdhsa_dx10_clamp 1
		.amdhsa_ieee_mode 1
		.amdhsa_fp16_overflow 0
		.amdhsa_tg_split 0
		.amdhsa_exception_fp_ieee_invalid_op 0
		.amdhsa_exception_fp_denorm_src 0
		.amdhsa_exception_fp_ieee_div_zero 0
		.amdhsa_exception_fp_ieee_overflow 0
		.amdhsa_exception_fp_ieee_underflow 0
		.amdhsa_exception_fp_ieee_inexact 0
		.amdhsa_exception_int_div_zero 0
	.end_amdhsa_kernel
	.section	.text._ZL26rocblas_dgmm_gfx942_kernelILi32ELi32ELb0EPK19rocblas_complex_numIfEPS1_EviiT2_lllS5_lllT3_lll,"axG",@progbits,_ZL26rocblas_dgmm_gfx942_kernelILi32ELi32ELb0EPK19rocblas_complex_numIfEPS1_EviiT2_lllS5_lllT3_lll,comdat
.Lfunc_end8:
	.size	_ZL26rocblas_dgmm_gfx942_kernelILi32ELi32ELb0EPK19rocblas_complex_numIfEPS1_EviiT2_lllS5_lllT3_lll, .Lfunc_end8-_ZL26rocblas_dgmm_gfx942_kernelILi32ELi32ELb0EPK19rocblas_complex_numIfEPS1_EviiT2_lllS5_lllT3_lll
                                        ; -- End function
	.set _ZL26rocblas_dgmm_gfx942_kernelILi32ELi32ELb0EPK19rocblas_complex_numIfEPS1_EviiT2_lllS5_lllT3_lll.num_vgpr, 0
	.set _ZL26rocblas_dgmm_gfx942_kernelILi32ELi32ELb0EPK19rocblas_complex_numIfEPS1_EviiT2_lllS5_lllT3_lll.num_agpr, 0
	.set _ZL26rocblas_dgmm_gfx942_kernelILi32ELi32ELb0EPK19rocblas_complex_numIfEPS1_EviiT2_lllS5_lllT3_lll.numbered_sgpr, 0
	.set _ZL26rocblas_dgmm_gfx942_kernelILi32ELi32ELb0EPK19rocblas_complex_numIfEPS1_EviiT2_lllS5_lllT3_lll.num_named_barrier, 0
	.set _ZL26rocblas_dgmm_gfx942_kernelILi32ELi32ELb0EPK19rocblas_complex_numIfEPS1_EviiT2_lllS5_lllT3_lll.private_seg_size, 0
	.set _ZL26rocblas_dgmm_gfx942_kernelILi32ELi32ELb0EPK19rocblas_complex_numIfEPS1_EviiT2_lllS5_lllT3_lll.uses_vcc, 0
	.set _ZL26rocblas_dgmm_gfx942_kernelILi32ELi32ELb0EPK19rocblas_complex_numIfEPS1_EviiT2_lllS5_lllT3_lll.uses_flat_scratch, 0
	.set _ZL26rocblas_dgmm_gfx942_kernelILi32ELi32ELb0EPK19rocblas_complex_numIfEPS1_EviiT2_lllS5_lllT3_lll.has_dyn_sized_stack, 0
	.set _ZL26rocblas_dgmm_gfx942_kernelILi32ELi32ELb0EPK19rocblas_complex_numIfEPS1_EviiT2_lllS5_lllT3_lll.has_recursion, 0
	.set _ZL26rocblas_dgmm_gfx942_kernelILi32ELi32ELb0EPK19rocblas_complex_numIfEPS1_EviiT2_lllS5_lllT3_lll.has_indirect_call, 0
	.section	.AMDGPU.csdata,"",@progbits
; Kernel info:
; codeLenInByte = 4
; TotalNumSgprs: 6
; NumVgprs: 0
; NumAgprs: 0
; TotalNumVgprs: 0
; ScratchSize: 0
; MemoryBound: 0
; FloatMode: 240
; IeeeMode: 1
; LDSByteSize: 0 bytes/workgroup (compile time only)
; SGPRBlocks: 0
; VGPRBlocks: 0
; NumSGPRsForWavesPerEU: 6
; NumVGPRsForWavesPerEU: 1
; AccumOffset: 4
; Occupancy: 8
; WaveLimiterHint : 0
; COMPUTE_PGM_RSRC2:SCRATCH_EN: 0
; COMPUTE_PGM_RSRC2:USER_SGPR: 2
; COMPUTE_PGM_RSRC2:TRAP_HANDLER: 0
; COMPUTE_PGM_RSRC2:TGID_X_EN: 1
; COMPUTE_PGM_RSRC2:TGID_Y_EN: 0
; COMPUTE_PGM_RSRC2:TGID_Z_EN: 0
; COMPUTE_PGM_RSRC2:TIDIG_COMP_CNT: 0
; COMPUTE_PGM_RSRC3_GFX90A:ACCUM_OFFSET: 0
; COMPUTE_PGM_RSRC3_GFX90A:TG_SPLIT: 0
	.section	.text._ZL19rocblas_dgmm_kernelILi16ELi16ELb0EPK19rocblas_complex_numIfEPS1_EviiT2_lllS5_lllT3_llli,"axG",@progbits,_ZL19rocblas_dgmm_kernelILi16ELi16ELb0EPK19rocblas_complex_numIfEPS1_EviiT2_lllS5_lllT3_llli,comdat
	.globl	_ZL19rocblas_dgmm_kernelILi16ELi16ELb0EPK19rocblas_complex_numIfEPS1_EviiT2_lllS5_lllT3_llli ; -- Begin function _ZL19rocblas_dgmm_kernelILi16ELi16ELb0EPK19rocblas_complex_numIfEPS1_EviiT2_lllS5_lllT3_llli
	.p2align	8
	.type	_ZL19rocblas_dgmm_kernelILi16ELi16ELb0EPK19rocblas_complex_numIfEPS1_EviiT2_lllS5_lllT3_llli,@function
_ZL19rocblas_dgmm_kernelILi16ELi16ELb0EPK19rocblas_complex_numIfEPS1_EviiT2_lllS5_lllT3_llli: ; @_ZL19rocblas_dgmm_kernelILi16ELi16ELb0EPK19rocblas_complex_numIfEPS1_EviiT2_lllS5_lllT3_llli
; %bb.0:
	s_load_dwordx2 s[6:7], s[0:1], 0x0
	v_and_b32_e32 v1, 0x3ff, v0
	v_bfe_u32 v0, v0, 10, 10
	v_lshl_add_u32 v2, s2, 4, v1
	v_lshl_add_u32 v6, s3, 4, v0
	s_waitcnt lgkmcnt(0)
	v_cmp_gt_i32_e32 vcc, s6, v2
	v_cmp_gt_i32_e64 s[2:3], s7, v6
	s_and_b64 s[2:3], vcc, s[2:3]
	s_and_saveexec_b64 s[8:9], s[2:3]
	s_cbranch_execz .LBB9_3
; %bb.1:
	s_load_dwordx8 s[24:31], s[0:1], 0x48
	s_load_dwordx16 s[8:23], s[0:1], 0x8
	v_ashrrev_i32_e32 v3, 31, v2
	v_lshlrev_b64 v[4:5], 3, v[2:3]
	s_waitcnt lgkmcnt(0)
	s_lshl_b64 s[2:3], s[26:27], 3
	s_add_u32 s6, s24, s2
	s_mul_i32 s5, s15, s4
	s_addc_u32 s15, s25, s3
	s_lshl_b64 s[2:3], s[18:19], 3
	s_add_u32 s16, s16, s2
	s_addc_u32 s17, s17, s3
	s_lshl_b64 s[2:3], s[10:11], 3
	s_add_u32 s8, s8, s2
	s_mul_hi_u32 s2, s14, s4
	s_addc_u32 s9, s9, s3
	s_add_i32 s3, s2, s5
	s_mul_i32 s2, s14, s4
	s_lshl_b64 s[2:3], s[2:3], 3
	s_add_u32 s2, s8, s2
	s_mul_i32 s5, s23, s4
	s_mul_hi_u32 s8, s22, s4
	s_addc_u32 s3, s9, s3
	s_add_i32 s9, s8, s5
	s_mul_i32 s8, s22, s4
	s_lshl_b64 s[8:9], s[8:9], 3
	s_add_u32 s8, s16, s8
	s_mul_i32 s5, s31, s4
	s_mul_hi_u32 s10, s30, s4
	v_lshl_add_u64 v[0:1], s[2:3], 0, v[4:5]
	s_load_dword s2, s[0:1], 0x74
	s_addc_u32 s9, s17, s9
	s_add_i32 s5, s10, s5
	s_mul_i32 s4, s30, s4
	s_lshl_b64 s[4:5], s[4:5], 3
	s_add_u32 s4, s6, s4
	v_mul_lo_u32 v7, s21, v2
	v_mul_lo_u32 v8, s20, v3
	v_mad_u64_u32 v[2:3], s[0:1], s20, v2, 0
	s_addc_u32 s5, s15, s5
	v_add3_u32 v3, v3, v8, v7
	v_lshl_add_u64 v[2:3], v[2:3], 3, s[8:9]
	v_lshl_add_u64 v[4:5], s[4:5], 0, v[4:5]
	s_waitcnt lgkmcnt(0)
	s_lshl_b32 s2, s2, 4
	s_mov_b64 s[0:1], 0
.LBB9_2:                                ; =>This Inner Loop Header: Depth=1
	v_ashrrev_i32_e32 v7, 31, v6
	v_mul_lo_u32 v12, s13, v6
	v_mad_u64_u32 v[8:9], s[4:5], s12, v6, 0
	v_mul_lo_u32 v13, s12, v7
	v_add3_u32 v9, v9, v13, v12
	v_lshl_add_u64 v[8:9], v[8:9], 3, v[0:1]
	global_load_dwordx2 v[10:11], v[2:3], off
	v_mul_lo_u32 v14, s29, v6
	global_load_dwordx2 v[8:9], v[8:9], off
	v_mad_u64_u32 v[12:13], s[4:5], s28, v6, 0
	v_mul_lo_u32 v7, s28, v7
	v_add_u32_e32 v6, s2, v6
	v_add3_u32 v13, v13, v7, v14
	v_cmp_le_i32_e32 vcc, s7, v6
	s_or_b64 s[0:1], vcc, s[0:1]
	v_lshl_add_u64 v[12:13], v[12:13], 3, v[4:5]
	s_waitcnt vmcnt(0)
	v_pk_mul_f32 v[14:15], v[10:11], v[8:9] op_sel:[1,1] op_sel_hi:[0,1]
	v_pk_fma_f32 v[16:17], v[10:11], v[8:9], v[14:15] neg_lo:[0,0,1] neg_hi:[0,0,1]
	v_pk_fma_f32 v[8:9], v[10:11], v[8:9], v[14:15] op_sel_hi:[1,0,1]
	s_nop 0
	v_mov_b32_e32 v17, v9
	global_store_dwordx2 v[12:13], v[16:17], off
	s_andn2_b64 exec, exec, s[0:1]
	s_cbranch_execnz .LBB9_2
.LBB9_3:
	s_endpgm
	.section	.rodata,"a",@progbits
	.p2align	6, 0x0
	.amdhsa_kernel _ZL19rocblas_dgmm_kernelILi16ELi16ELb0EPK19rocblas_complex_numIfEPS1_EviiT2_lllS5_lllT3_llli
		.amdhsa_group_segment_fixed_size 0
		.amdhsa_private_segment_fixed_size 0
		.amdhsa_kernarg_size 368
		.amdhsa_user_sgpr_count 2
		.amdhsa_user_sgpr_dispatch_ptr 0
		.amdhsa_user_sgpr_queue_ptr 0
		.amdhsa_user_sgpr_kernarg_segment_ptr 1
		.amdhsa_user_sgpr_dispatch_id 0
		.amdhsa_user_sgpr_kernarg_preload_length 0
		.amdhsa_user_sgpr_kernarg_preload_offset 0
		.amdhsa_user_sgpr_private_segment_size 0
		.amdhsa_uses_dynamic_stack 0
		.amdhsa_enable_private_segment 0
		.amdhsa_system_sgpr_workgroup_id_x 1
		.amdhsa_system_sgpr_workgroup_id_y 1
		.amdhsa_system_sgpr_workgroup_id_z 1
		.amdhsa_system_sgpr_workgroup_info 0
		.amdhsa_system_vgpr_workitem_id 1
		.amdhsa_next_free_vgpr 18
		.amdhsa_next_free_sgpr 32
		.amdhsa_accum_offset 20
		.amdhsa_reserve_vcc 1
		.amdhsa_float_round_mode_32 0
		.amdhsa_float_round_mode_16_64 0
		.amdhsa_float_denorm_mode_32 3
		.amdhsa_float_denorm_mode_16_64 3
		.amdhsa_dx10_clamp 1
		.amdhsa_ieee_mode 1
		.amdhsa_fp16_overflow 0
		.amdhsa_tg_split 0
		.amdhsa_exception_fp_ieee_invalid_op 0
		.amdhsa_exception_fp_denorm_src 0
		.amdhsa_exception_fp_ieee_div_zero 0
		.amdhsa_exception_fp_ieee_overflow 0
		.amdhsa_exception_fp_ieee_underflow 0
		.amdhsa_exception_fp_ieee_inexact 0
		.amdhsa_exception_int_div_zero 0
	.end_amdhsa_kernel
	.section	.text._ZL19rocblas_dgmm_kernelILi16ELi16ELb0EPK19rocblas_complex_numIfEPS1_EviiT2_lllS5_lllT3_llli,"axG",@progbits,_ZL19rocblas_dgmm_kernelILi16ELi16ELb0EPK19rocblas_complex_numIfEPS1_EviiT2_lllS5_lllT3_llli,comdat
.Lfunc_end9:
	.size	_ZL19rocblas_dgmm_kernelILi16ELi16ELb0EPK19rocblas_complex_numIfEPS1_EviiT2_lllS5_lllT3_llli, .Lfunc_end9-_ZL19rocblas_dgmm_kernelILi16ELi16ELb0EPK19rocblas_complex_numIfEPS1_EviiT2_lllS5_lllT3_llli
                                        ; -- End function
	.set _ZL19rocblas_dgmm_kernelILi16ELi16ELb0EPK19rocblas_complex_numIfEPS1_EviiT2_lllS5_lllT3_llli.num_vgpr, 18
	.set _ZL19rocblas_dgmm_kernelILi16ELi16ELb0EPK19rocblas_complex_numIfEPS1_EviiT2_lllS5_lllT3_llli.num_agpr, 0
	.set _ZL19rocblas_dgmm_kernelILi16ELi16ELb0EPK19rocblas_complex_numIfEPS1_EviiT2_lllS5_lllT3_llli.numbered_sgpr, 32
	.set _ZL19rocblas_dgmm_kernelILi16ELi16ELb0EPK19rocblas_complex_numIfEPS1_EviiT2_lllS5_lllT3_llli.num_named_barrier, 0
	.set _ZL19rocblas_dgmm_kernelILi16ELi16ELb0EPK19rocblas_complex_numIfEPS1_EviiT2_lllS5_lllT3_llli.private_seg_size, 0
	.set _ZL19rocblas_dgmm_kernelILi16ELi16ELb0EPK19rocblas_complex_numIfEPS1_EviiT2_lllS5_lllT3_llli.uses_vcc, 1
	.set _ZL19rocblas_dgmm_kernelILi16ELi16ELb0EPK19rocblas_complex_numIfEPS1_EviiT2_lllS5_lllT3_llli.uses_flat_scratch, 0
	.set _ZL19rocblas_dgmm_kernelILi16ELi16ELb0EPK19rocblas_complex_numIfEPS1_EviiT2_lllS5_lllT3_llli.has_dyn_sized_stack, 0
	.set _ZL19rocblas_dgmm_kernelILi16ELi16ELb0EPK19rocblas_complex_numIfEPS1_EviiT2_lllS5_lllT3_llli.has_recursion, 0
	.set _ZL19rocblas_dgmm_kernelILi16ELi16ELb0EPK19rocblas_complex_numIfEPS1_EviiT2_lllS5_lllT3_llli.has_indirect_call, 0
	.section	.AMDGPU.csdata,"",@progbits
; Kernel info:
; codeLenInByte = 464
; TotalNumSgprs: 38
; NumVgprs: 18
; NumAgprs: 0
; TotalNumVgprs: 18
; ScratchSize: 0
; MemoryBound: 0
; FloatMode: 240
; IeeeMode: 1
; LDSByteSize: 0 bytes/workgroup (compile time only)
; SGPRBlocks: 4
; VGPRBlocks: 2
; NumSGPRsForWavesPerEU: 38
; NumVGPRsForWavesPerEU: 18
; AccumOffset: 20
; Occupancy: 8
; WaveLimiterHint : 0
; COMPUTE_PGM_RSRC2:SCRATCH_EN: 0
; COMPUTE_PGM_RSRC2:USER_SGPR: 2
; COMPUTE_PGM_RSRC2:TRAP_HANDLER: 0
; COMPUTE_PGM_RSRC2:TGID_X_EN: 1
; COMPUTE_PGM_RSRC2:TGID_Y_EN: 1
; COMPUTE_PGM_RSRC2:TGID_Z_EN: 1
; COMPUTE_PGM_RSRC2:TIDIG_COMP_CNT: 1
; COMPUTE_PGM_RSRC3_GFX90A:ACCUM_OFFSET: 4
; COMPUTE_PGM_RSRC3_GFX90A:TG_SPLIT: 0
	.section	.text._ZL26rocblas_dgmm_gfx942_kernelILi32ELi32ELb1EPK19rocblas_complex_numIfEPS1_EviiT2_lllS5_lllT3_lll,"axG",@progbits,_ZL26rocblas_dgmm_gfx942_kernelILi32ELi32ELb1EPK19rocblas_complex_numIfEPS1_EviiT2_lllS5_lllT3_lll,comdat
	.globl	_ZL26rocblas_dgmm_gfx942_kernelILi32ELi32ELb1EPK19rocblas_complex_numIfEPS1_EviiT2_lllS5_lllT3_lll ; -- Begin function _ZL26rocblas_dgmm_gfx942_kernelILi32ELi32ELb1EPK19rocblas_complex_numIfEPS1_EviiT2_lllS5_lllT3_lll
	.p2align	8
	.type	_ZL26rocblas_dgmm_gfx942_kernelILi32ELi32ELb1EPK19rocblas_complex_numIfEPS1_EviiT2_lllS5_lllT3_lll,@function
_ZL26rocblas_dgmm_gfx942_kernelILi32ELi32ELb1EPK19rocblas_complex_numIfEPS1_EviiT2_lllS5_lllT3_lll: ; @_ZL26rocblas_dgmm_gfx942_kernelILi32ELi32ELb1EPK19rocblas_complex_numIfEPS1_EviiT2_lllS5_lllT3_lll
; %bb.0:
	s_endpgm
	.section	.rodata,"a",@progbits
	.p2align	6, 0x0
	.amdhsa_kernel _ZL26rocblas_dgmm_gfx942_kernelILi32ELi32ELb1EPK19rocblas_complex_numIfEPS1_EviiT2_lllS5_lllT3_lll
		.amdhsa_group_segment_fixed_size 0
		.amdhsa_private_segment_fixed_size 0
		.amdhsa_kernarg_size 104
		.amdhsa_user_sgpr_count 2
		.amdhsa_user_sgpr_dispatch_ptr 0
		.amdhsa_user_sgpr_queue_ptr 0
		.amdhsa_user_sgpr_kernarg_segment_ptr 1
		.amdhsa_user_sgpr_dispatch_id 0
		.amdhsa_user_sgpr_kernarg_preload_length 0
		.amdhsa_user_sgpr_kernarg_preload_offset 0
		.amdhsa_user_sgpr_private_segment_size 0
		.amdhsa_uses_dynamic_stack 0
		.amdhsa_enable_private_segment 0
		.amdhsa_system_sgpr_workgroup_id_x 1
		.amdhsa_system_sgpr_workgroup_id_y 0
		.amdhsa_system_sgpr_workgroup_id_z 0
		.amdhsa_system_sgpr_workgroup_info 0
		.amdhsa_system_vgpr_workitem_id 0
		.amdhsa_next_free_vgpr 1
		.amdhsa_next_free_sgpr 0
		.amdhsa_accum_offset 4
		.amdhsa_reserve_vcc 0
		.amdhsa_float_round_mode_32 0
		.amdhsa_float_round_mode_16_64 0
		.amdhsa_float_denorm_mode_32 3
		.amdhsa_float_denorm_mode_16_64 3
		.amdhsa_dx10_clamp 1
		.amdhsa_ieee_mode 1
		.amdhsa_fp16_overflow 0
		.amdhsa_tg_split 0
		.amdhsa_exception_fp_ieee_invalid_op 0
		.amdhsa_exception_fp_denorm_src 0
		.amdhsa_exception_fp_ieee_div_zero 0
		.amdhsa_exception_fp_ieee_overflow 0
		.amdhsa_exception_fp_ieee_underflow 0
		.amdhsa_exception_fp_ieee_inexact 0
		.amdhsa_exception_int_div_zero 0
	.end_amdhsa_kernel
	.section	.text._ZL26rocblas_dgmm_gfx942_kernelILi32ELi32ELb1EPK19rocblas_complex_numIfEPS1_EviiT2_lllS5_lllT3_lll,"axG",@progbits,_ZL26rocblas_dgmm_gfx942_kernelILi32ELi32ELb1EPK19rocblas_complex_numIfEPS1_EviiT2_lllS5_lllT3_lll,comdat
.Lfunc_end10:
	.size	_ZL26rocblas_dgmm_gfx942_kernelILi32ELi32ELb1EPK19rocblas_complex_numIfEPS1_EviiT2_lllS5_lllT3_lll, .Lfunc_end10-_ZL26rocblas_dgmm_gfx942_kernelILi32ELi32ELb1EPK19rocblas_complex_numIfEPS1_EviiT2_lllS5_lllT3_lll
                                        ; -- End function
	.set _ZL26rocblas_dgmm_gfx942_kernelILi32ELi32ELb1EPK19rocblas_complex_numIfEPS1_EviiT2_lllS5_lllT3_lll.num_vgpr, 0
	.set _ZL26rocblas_dgmm_gfx942_kernelILi32ELi32ELb1EPK19rocblas_complex_numIfEPS1_EviiT2_lllS5_lllT3_lll.num_agpr, 0
	.set _ZL26rocblas_dgmm_gfx942_kernelILi32ELi32ELb1EPK19rocblas_complex_numIfEPS1_EviiT2_lllS5_lllT3_lll.numbered_sgpr, 0
	.set _ZL26rocblas_dgmm_gfx942_kernelILi32ELi32ELb1EPK19rocblas_complex_numIfEPS1_EviiT2_lllS5_lllT3_lll.num_named_barrier, 0
	.set _ZL26rocblas_dgmm_gfx942_kernelILi32ELi32ELb1EPK19rocblas_complex_numIfEPS1_EviiT2_lllS5_lllT3_lll.private_seg_size, 0
	.set _ZL26rocblas_dgmm_gfx942_kernelILi32ELi32ELb1EPK19rocblas_complex_numIfEPS1_EviiT2_lllS5_lllT3_lll.uses_vcc, 0
	.set _ZL26rocblas_dgmm_gfx942_kernelILi32ELi32ELb1EPK19rocblas_complex_numIfEPS1_EviiT2_lllS5_lllT3_lll.uses_flat_scratch, 0
	.set _ZL26rocblas_dgmm_gfx942_kernelILi32ELi32ELb1EPK19rocblas_complex_numIfEPS1_EviiT2_lllS5_lllT3_lll.has_dyn_sized_stack, 0
	.set _ZL26rocblas_dgmm_gfx942_kernelILi32ELi32ELb1EPK19rocblas_complex_numIfEPS1_EviiT2_lllS5_lllT3_lll.has_recursion, 0
	.set _ZL26rocblas_dgmm_gfx942_kernelILi32ELi32ELb1EPK19rocblas_complex_numIfEPS1_EviiT2_lllS5_lllT3_lll.has_indirect_call, 0
	.section	.AMDGPU.csdata,"",@progbits
; Kernel info:
; codeLenInByte = 4
; TotalNumSgprs: 6
; NumVgprs: 0
; NumAgprs: 0
; TotalNumVgprs: 0
; ScratchSize: 0
; MemoryBound: 0
; FloatMode: 240
; IeeeMode: 1
; LDSByteSize: 0 bytes/workgroup (compile time only)
; SGPRBlocks: 0
; VGPRBlocks: 0
; NumSGPRsForWavesPerEU: 6
; NumVGPRsForWavesPerEU: 1
; AccumOffset: 4
; Occupancy: 8
; WaveLimiterHint : 0
; COMPUTE_PGM_RSRC2:SCRATCH_EN: 0
; COMPUTE_PGM_RSRC2:USER_SGPR: 2
; COMPUTE_PGM_RSRC2:TRAP_HANDLER: 0
; COMPUTE_PGM_RSRC2:TGID_X_EN: 1
; COMPUTE_PGM_RSRC2:TGID_Y_EN: 0
; COMPUTE_PGM_RSRC2:TGID_Z_EN: 0
; COMPUTE_PGM_RSRC2:TIDIG_COMP_CNT: 0
; COMPUTE_PGM_RSRC3_GFX90A:ACCUM_OFFSET: 0
; COMPUTE_PGM_RSRC3_GFX90A:TG_SPLIT: 0
	.section	.text._ZL19rocblas_dgmm_kernelILi16ELi16ELb1EPK19rocblas_complex_numIfEPS1_EviiT2_lllS5_lllT3_llli,"axG",@progbits,_ZL19rocblas_dgmm_kernelILi16ELi16ELb1EPK19rocblas_complex_numIfEPS1_EviiT2_lllS5_lllT3_llli,comdat
	.globl	_ZL19rocblas_dgmm_kernelILi16ELi16ELb1EPK19rocblas_complex_numIfEPS1_EviiT2_lllS5_lllT3_llli ; -- Begin function _ZL19rocblas_dgmm_kernelILi16ELi16ELb1EPK19rocblas_complex_numIfEPS1_EviiT2_lllS5_lllT3_llli
	.p2align	8
	.type	_ZL19rocblas_dgmm_kernelILi16ELi16ELb1EPK19rocblas_complex_numIfEPS1_EviiT2_lllS5_lllT3_llli,@function
_ZL19rocblas_dgmm_kernelILi16ELi16ELb1EPK19rocblas_complex_numIfEPS1_EviiT2_lllS5_lllT3_llli: ; @_ZL19rocblas_dgmm_kernelILi16ELi16ELb1EPK19rocblas_complex_numIfEPS1_EviiT2_lllS5_lllT3_llli
; %bb.0:
	s_load_dwordx2 s[6:7], s[0:1], 0x0
	v_and_b32_e32 v1, 0x3ff, v0
	v_bfe_u32 v0, v0, 10, 10
	v_lshl_add_u32 v2, s2, 4, v1
	v_lshl_add_u32 v4, s3, 4, v0
	s_waitcnt lgkmcnt(0)
	v_cmp_gt_i32_e32 vcc, s6, v2
	v_cmp_gt_i32_e64 s[2:3], s7, v4
	s_and_b64 s[2:3], vcc, s[2:3]
	s_and_saveexec_b64 s[8:9], s[2:3]
	s_cbranch_execz .LBB11_3
; %bb.1:
	s_load_dwordx8 s[24:31], s[0:1], 0x48
	s_load_dwordx16 s[8:23], s[0:1], 0x8
	v_ashrrev_i32_e32 v3, 31, v2
	s_load_dword s0, s[0:1], 0x74
	v_lshlrev_b64 v[2:3], 3, v[2:3]
	s_waitcnt lgkmcnt(0)
	s_lshl_b64 s[2:3], s[26:27], 3
	s_add_u32 s6, s24, s2
	s_mul_i32 s5, s15, s4
	s_addc_u32 s15, s25, s3
	s_lshl_b64 s[2:3], s[18:19], 3
	s_add_u32 s16, s16, s2
	s_addc_u32 s17, s17, s3
	s_lshl_b64 s[2:3], s[10:11], 3
	s_add_u32 s8, s8, s2
	s_mul_hi_u32 s2, s14, s4
	s_addc_u32 s9, s9, s3
	s_add_i32 s3, s2, s5
	s_mul_i32 s2, s14, s4
	s_lshl_b64 s[2:3], s[2:3], 3
	s_add_u32 s8, s8, s2
	s_addc_u32 s9, s9, s3
	s_mul_i32 s2, s23, s4
	s_mul_hi_u32 s3, s22, s4
	s_add_i32 s3, s3, s2
	s_mul_i32 s2, s22, s4
	s_lshl_b64 s[2:3], s[2:3], 3
	s_add_u32 s2, s16, s2
	s_mul_i32 s5, s31, s4
	s_mul_hi_u32 s10, s30, s4
	s_addc_u32 s3, s17, s3
	s_add_i32 s5, s10, s5
	s_mul_i32 s4, s30, s4
	s_lshl_b64 s[4:5], s[4:5], 3
	s_add_u32 s4, s6, s4
	s_addc_u32 s5, s15, s5
	v_lshl_add_u64 v[0:1], s[8:9], 0, v[2:3]
	v_lshl_add_u64 v[2:3], s[4:5], 0, v[2:3]
	s_lshl_b32 s4, s0, 4
	s_mov_b64 s[0:1], 0
.LBB11_2:                               ; =>This Inner Loop Header: Depth=1
	v_ashrrev_i32_e32 v5, 31, v4
	v_mul_lo_u32 v10, s13, v4
	v_mad_u64_u32 v[6:7], s[8:9], s12, v4, 0
	v_mul_lo_u32 v12, s12, v5
	v_mul_lo_u32 v11, s21, v4
	v_mad_u64_u32 v[8:9], s[8:9], s20, v4, 0
	v_mul_lo_u32 v13, s20, v5
	v_add3_u32 v7, v7, v12, v10
	v_add3_u32 v9, v9, v13, v11
	v_lshl_add_u64 v[6:7], v[6:7], 3, v[0:1]
	v_lshl_add_u64 v[8:9], v[8:9], 3, s[2:3]
	global_load_dwordx2 v[10:11], v[6:7], off
	global_load_dwordx2 v[12:13], v[8:9], off
	v_mul_lo_u32 v8, s29, v4
	v_mad_u64_u32 v[6:7], s[8:9], s28, v4, 0
	v_mul_lo_u32 v5, s28, v5
	v_add_u32_e32 v4, s4, v4
	v_add3_u32 v7, v7, v5, v8
	v_cmp_le_i32_e32 vcc, s7, v4
	s_or_b64 s[0:1], vcc, s[0:1]
	v_lshl_add_u64 v[6:7], v[6:7], 3, v[2:3]
	s_waitcnt vmcnt(0)
	v_pk_mul_f32 v[8:9], v[12:13], v[10:11] op_sel:[1,1] op_sel_hi:[0,1]
	v_pk_fma_f32 v[14:15], v[12:13], v[10:11], v[8:9] neg_lo:[0,0,1] neg_hi:[0,0,1]
	v_pk_fma_f32 v[8:9], v[12:13], v[10:11], v[8:9] op_sel_hi:[1,0,1]
	s_nop 0
	v_mov_b32_e32 v15, v9
	global_store_dwordx2 v[6:7], v[14:15], off
	s_andn2_b64 exec, exec, s[0:1]
	s_cbranch_execnz .LBB11_2
.LBB11_3:
	s_endpgm
	.section	.rodata,"a",@progbits
	.p2align	6, 0x0
	.amdhsa_kernel _ZL19rocblas_dgmm_kernelILi16ELi16ELb1EPK19rocblas_complex_numIfEPS1_EviiT2_lllS5_lllT3_llli
		.amdhsa_group_segment_fixed_size 0
		.amdhsa_private_segment_fixed_size 0
		.amdhsa_kernarg_size 368
		.amdhsa_user_sgpr_count 2
		.amdhsa_user_sgpr_dispatch_ptr 0
		.amdhsa_user_sgpr_queue_ptr 0
		.amdhsa_user_sgpr_kernarg_segment_ptr 1
		.amdhsa_user_sgpr_dispatch_id 0
		.amdhsa_user_sgpr_kernarg_preload_length 0
		.amdhsa_user_sgpr_kernarg_preload_offset 0
		.amdhsa_user_sgpr_private_segment_size 0
		.amdhsa_uses_dynamic_stack 0
		.amdhsa_enable_private_segment 0
		.amdhsa_system_sgpr_workgroup_id_x 1
		.amdhsa_system_sgpr_workgroup_id_y 1
		.amdhsa_system_sgpr_workgroup_id_z 1
		.amdhsa_system_sgpr_workgroup_info 0
		.amdhsa_system_vgpr_workitem_id 1
		.amdhsa_next_free_vgpr 16
		.amdhsa_next_free_sgpr 32
		.amdhsa_accum_offset 16
		.amdhsa_reserve_vcc 1
		.amdhsa_float_round_mode_32 0
		.amdhsa_float_round_mode_16_64 0
		.amdhsa_float_denorm_mode_32 3
		.amdhsa_float_denorm_mode_16_64 3
		.amdhsa_dx10_clamp 1
		.amdhsa_ieee_mode 1
		.amdhsa_fp16_overflow 0
		.amdhsa_tg_split 0
		.amdhsa_exception_fp_ieee_invalid_op 0
		.amdhsa_exception_fp_denorm_src 0
		.amdhsa_exception_fp_ieee_div_zero 0
		.amdhsa_exception_fp_ieee_overflow 0
		.amdhsa_exception_fp_ieee_underflow 0
		.amdhsa_exception_fp_ieee_inexact 0
		.amdhsa_exception_int_div_zero 0
	.end_amdhsa_kernel
	.section	.text._ZL19rocblas_dgmm_kernelILi16ELi16ELb1EPK19rocblas_complex_numIfEPS1_EviiT2_lllS5_lllT3_llli,"axG",@progbits,_ZL19rocblas_dgmm_kernelILi16ELi16ELb1EPK19rocblas_complex_numIfEPS1_EviiT2_lllS5_lllT3_llli,comdat
.Lfunc_end11:
	.size	_ZL19rocblas_dgmm_kernelILi16ELi16ELb1EPK19rocblas_complex_numIfEPS1_EviiT2_lllS5_lllT3_llli, .Lfunc_end11-_ZL19rocblas_dgmm_kernelILi16ELi16ELb1EPK19rocblas_complex_numIfEPS1_EviiT2_lllS5_lllT3_llli
                                        ; -- End function
	.set _ZL19rocblas_dgmm_kernelILi16ELi16ELb1EPK19rocblas_complex_numIfEPS1_EviiT2_lllS5_lllT3_llli.num_vgpr, 16
	.set _ZL19rocblas_dgmm_kernelILi16ELi16ELb1EPK19rocblas_complex_numIfEPS1_EviiT2_lllS5_lllT3_llli.num_agpr, 0
	.set _ZL19rocblas_dgmm_kernelILi16ELi16ELb1EPK19rocblas_complex_numIfEPS1_EviiT2_lllS5_lllT3_llli.numbered_sgpr, 32
	.set _ZL19rocblas_dgmm_kernelILi16ELi16ELb1EPK19rocblas_complex_numIfEPS1_EviiT2_lllS5_lllT3_llli.num_named_barrier, 0
	.set _ZL19rocblas_dgmm_kernelILi16ELi16ELb1EPK19rocblas_complex_numIfEPS1_EviiT2_lllS5_lllT3_llli.private_seg_size, 0
	.set _ZL19rocblas_dgmm_kernelILi16ELi16ELb1EPK19rocblas_complex_numIfEPS1_EviiT2_lllS5_lllT3_llli.uses_vcc, 1
	.set _ZL19rocblas_dgmm_kernelILi16ELi16ELb1EPK19rocblas_complex_numIfEPS1_EviiT2_lllS5_lllT3_llli.uses_flat_scratch, 0
	.set _ZL19rocblas_dgmm_kernelILi16ELi16ELb1EPK19rocblas_complex_numIfEPS1_EviiT2_lllS5_lllT3_llli.has_dyn_sized_stack, 0
	.set _ZL19rocblas_dgmm_kernelILi16ELi16ELb1EPK19rocblas_complex_numIfEPS1_EviiT2_lllS5_lllT3_llli.has_recursion, 0
	.set _ZL19rocblas_dgmm_kernelILi16ELi16ELb1EPK19rocblas_complex_numIfEPS1_EviiT2_lllS5_lllT3_llli.has_indirect_call, 0
	.section	.AMDGPU.csdata,"",@progbits
; Kernel info:
; codeLenInByte = 460
; TotalNumSgprs: 38
; NumVgprs: 16
; NumAgprs: 0
; TotalNumVgprs: 16
; ScratchSize: 0
; MemoryBound: 0
; FloatMode: 240
; IeeeMode: 1
; LDSByteSize: 0 bytes/workgroup (compile time only)
; SGPRBlocks: 4
; VGPRBlocks: 1
; NumSGPRsForWavesPerEU: 38
; NumVGPRsForWavesPerEU: 16
; AccumOffset: 16
; Occupancy: 8
; WaveLimiterHint : 0
; COMPUTE_PGM_RSRC2:SCRATCH_EN: 0
; COMPUTE_PGM_RSRC2:USER_SGPR: 2
; COMPUTE_PGM_RSRC2:TRAP_HANDLER: 0
; COMPUTE_PGM_RSRC2:TGID_X_EN: 1
; COMPUTE_PGM_RSRC2:TGID_Y_EN: 1
; COMPUTE_PGM_RSRC2:TGID_Z_EN: 1
; COMPUTE_PGM_RSRC2:TIDIG_COMP_CNT: 1
; COMPUTE_PGM_RSRC3_GFX90A:ACCUM_OFFSET: 3
; COMPUTE_PGM_RSRC3_GFX90A:TG_SPLIT: 0
	.section	.text._ZL26rocblas_dgmm_gfx942_kernelILi32ELi32ELb0EPK19rocblas_complex_numIdEPS1_EviiT2_lllS5_lllT3_lll,"axG",@progbits,_ZL26rocblas_dgmm_gfx942_kernelILi32ELi32ELb0EPK19rocblas_complex_numIdEPS1_EviiT2_lllS5_lllT3_lll,comdat
	.globl	_ZL26rocblas_dgmm_gfx942_kernelILi32ELi32ELb0EPK19rocblas_complex_numIdEPS1_EviiT2_lllS5_lllT3_lll ; -- Begin function _ZL26rocblas_dgmm_gfx942_kernelILi32ELi32ELb0EPK19rocblas_complex_numIdEPS1_EviiT2_lllS5_lllT3_lll
	.p2align	8
	.type	_ZL26rocblas_dgmm_gfx942_kernelILi32ELi32ELb0EPK19rocblas_complex_numIdEPS1_EviiT2_lllS5_lllT3_lll,@function
_ZL26rocblas_dgmm_gfx942_kernelILi32ELi32ELb0EPK19rocblas_complex_numIdEPS1_EviiT2_lllS5_lllT3_lll: ; @_ZL26rocblas_dgmm_gfx942_kernelILi32ELi32ELb0EPK19rocblas_complex_numIdEPS1_EviiT2_lllS5_lllT3_lll
; %bb.0:
	s_endpgm
	.section	.rodata,"a",@progbits
	.p2align	6, 0x0
	.amdhsa_kernel _ZL26rocblas_dgmm_gfx942_kernelILi32ELi32ELb0EPK19rocblas_complex_numIdEPS1_EviiT2_lllS5_lllT3_lll
		.amdhsa_group_segment_fixed_size 0
		.amdhsa_private_segment_fixed_size 0
		.amdhsa_kernarg_size 104
		.amdhsa_user_sgpr_count 2
		.amdhsa_user_sgpr_dispatch_ptr 0
		.amdhsa_user_sgpr_queue_ptr 0
		.amdhsa_user_sgpr_kernarg_segment_ptr 1
		.amdhsa_user_sgpr_dispatch_id 0
		.amdhsa_user_sgpr_kernarg_preload_length 0
		.amdhsa_user_sgpr_kernarg_preload_offset 0
		.amdhsa_user_sgpr_private_segment_size 0
		.amdhsa_uses_dynamic_stack 0
		.amdhsa_enable_private_segment 0
		.amdhsa_system_sgpr_workgroup_id_x 1
		.amdhsa_system_sgpr_workgroup_id_y 0
		.amdhsa_system_sgpr_workgroup_id_z 0
		.amdhsa_system_sgpr_workgroup_info 0
		.amdhsa_system_vgpr_workitem_id 0
		.amdhsa_next_free_vgpr 1
		.amdhsa_next_free_sgpr 0
		.amdhsa_accum_offset 4
		.amdhsa_reserve_vcc 0
		.amdhsa_float_round_mode_32 0
		.amdhsa_float_round_mode_16_64 0
		.amdhsa_float_denorm_mode_32 3
		.amdhsa_float_denorm_mode_16_64 3
		.amdhsa_dx10_clamp 1
		.amdhsa_ieee_mode 1
		.amdhsa_fp16_overflow 0
		.amdhsa_tg_split 0
		.amdhsa_exception_fp_ieee_invalid_op 0
		.amdhsa_exception_fp_denorm_src 0
		.amdhsa_exception_fp_ieee_div_zero 0
		.amdhsa_exception_fp_ieee_overflow 0
		.amdhsa_exception_fp_ieee_underflow 0
		.amdhsa_exception_fp_ieee_inexact 0
		.amdhsa_exception_int_div_zero 0
	.end_amdhsa_kernel
	.section	.text._ZL26rocblas_dgmm_gfx942_kernelILi32ELi32ELb0EPK19rocblas_complex_numIdEPS1_EviiT2_lllS5_lllT3_lll,"axG",@progbits,_ZL26rocblas_dgmm_gfx942_kernelILi32ELi32ELb0EPK19rocblas_complex_numIdEPS1_EviiT2_lllS5_lllT3_lll,comdat
.Lfunc_end12:
	.size	_ZL26rocblas_dgmm_gfx942_kernelILi32ELi32ELb0EPK19rocblas_complex_numIdEPS1_EviiT2_lllS5_lllT3_lll, .Lfunc_end12-_ZL26rocblas_dgmm_gfx942_kernelILi32ELi32ELb0EPK19rocblas_complex_numIdEPS1_EviiT2_lllS5_lllT3_lll
                                        ; -- End function
	.set _ZL26rocblas_dgmm_gfx942_kernelILi32ELi32ELb0EPK19rocblas_complex_numIdEPS1_EviiT2_lllS5_lllT3_lll.num_vgpr, 0
	.set _ZL26rocblas_dgmm_gfx942_kernelILi32ELi32ELb0EPK19rocblas_complex_numIdEPS1_EviiT2_lllS5_lllT3_lll.num_agpr, 0
	.set _ZL26rocblas_dgmm_gfx942_kernelILi32ELi32ELb0EPK19rocblas_complex_numIdEPS1_EviiT2_lllS5_lllT3_lll.numbered_sgpr, 0
	.set _ZL26rocblas_dgmm_gfx942_kernelILi32ELi32ELb0EPK19rocblas_complex_numIdEPS1_EviiT2_lllS5_lllT3_lll.num_named_barrier, 0
	.set _ZL26rocblas_dgmm_gfx942_kernelILi32ELi32ELb0EPK19rocblas_complex_numIdEPS1_EviiT2_lllS5_lllT3_lll.private_seg_size, 0
	.set _ZL26rocblas_dgmm_gfx942_kernelILi32ELi32ELb0EPK19rocblas_complex_numIdEPS1_EviiT2_lllS5_lllT3_lll.uses_vcc, 0
	.set _ZL26rocblas_dgmm_gfx942_kernelILi32ELi32ELb0EPK19rocblas_complex_numIdEPS1_EviiT2_lllS5_lllT3_lll.uses_flat_scratch, 0
	.set _ZL26rocblas_dgmm_gfx942_kernelILi32ELi32ELb0EPK19rocblas_complex_numIdEPS1_EviiT2_lllS5_lllT3_lll.has_dyn_sized_stack, 0
	.set _ZL26rocblas_dgmm_gfx942_kernelILi32ELi32ELb0EPK19rocblas_complex_numIdEPS1_EviiT2_lllS5_lllT3_lll.has_recursion, 0
	.set _ZL26rocblas_dgmm_gfx942_kernelILi32ELi32ELb0EPK19rocblas_complex_numIdEPS1_EviiT2_lllS5_lllT3_lll.has_indirect_call, 0
	.section	.AMDGPU.csdata,"",@progbits
; Kernel info:
; codeLenInByte = 4
; TotalNumSgprs: 6
; NumVgprs: 0
; NumAgprs: 0
; TotalNumVgprs: 0
; ScratchSize: 0
; MemoryBound: 0
; FloatMode: 240
; IeeeMode: 1
; LDSByteSize: 0 bytes/workgroup (compile time only)
; SGPRBlocks: 0
; VGPRBlocks: 0
; NumSGPRsForWavesPerEU: 6
; NumVGPRsForWavesPerEU: 1
; AccumOffset: 4
; Occupancy: 8
; WaveLimiterHint : 0
; COMPUTE_PGM_RSRC2:SCRATCH_EN: 0
; COMPUTE_PGM_RSRC2:USER_SGPR: 2
; COMPUTE_PGM_RSRC2:TRAP_HANDLER: 0
; COMPUTE_PGM_RSRC2:TGID_X_EN: 1
; COMPUTE_PGM_RSRC2:TGID_Y_EN: 0
; COMPUTE_PGM_RSRC2:TGID_Z_EN: 0
; COMPUTE_PGM_RSRC2:TIDIG_COMP_CNT: 0
; COMPUTE_PGM_RSRC3_GFX90A:ACCUM_OFFSET: 0
; COMPUTE_PGM_RSRC3_GFX90A:TG_SPLIT: 0
	.section	.text._ZL19rocblas_dgmm_kernelILi16ELi16ELb0EPK19rocblas_complex_numIdEPS1_EviiT2_lllS5_lllT3_llli,"axG",@progbits,_ZL19rocblas_dgmm_kernelILi16ELi16ELb0EPK19rocblas_complex_numIdEPS1_EviiT2_lllS5_lllT3_llli,comdat
	.globl	_ZL19rocblas_dgmm_kernelILi16ELi16ELb0EPK19rocblas_complex_numIdEPS1_EviiT2_lllS5_lllT3_llli ; -- Begin function _ZL19rocblas_dgmm_kernelILi16ELi16ELb0EPK19rocblas_complex_numIdEPS1_EviiT2_lllS5_lllT3_llli
	.p2align	8
	.type	_ZL19rocblas_dgmm_kernelILi16ELi16ELb0EPK19rocblas_complex_numIdEPS1_EviiT2_lllS5_lllT3_llli,@function
_ZL19rocblas_dgmm_kernelILi16ELi16ELb0EPK19rocblas_complex_numIdEPS1_EviiT2_lllS5_lllT3_llli: ; @_ZL19rocblas_dgmm_kernelILi16ELi16ELb0EPK19rocblas_complex_numIdEPS1_EviiT2_lllS5_lllT3_llli
; %bb.0:
	s_load_dwordx2 s[6:7], s[0:1], 0x0
	v_and_b32_e32 v1, 0x3ff, v0
	v_bfe_u32 v0, v0, 10, 10
	v_lshl_add_u32 v2, s2, 4, v1
	v_lshl_add_u32 v6, s3, 4, v0
	s_waitcnt lgkmcnt(0)
	v_cmp_gt_i32_e32 vcc, s6, v2
	v_cmp_gt_i32_e64 s[2:3], s7, v6
	s_and_b64 s[2:3], vcc, s[2:3]
	s_and_saveexec_b64 s[8:9], s[2:3]
	s_cbranch_execz .LBB13_3
; %bb.1:
	s_load_dwordx8 s[24:31], s[0:1], 0x48
	s_load_dwordx16 s[8:23], s[0:1], 0x8
	v_ashrrev_i32_e32 v3, 31, v2
	v_lshlrev_b64 v[4:5], 4, v[2:3]
	s_waitcnt lgkmcnt(0)
	s_lshl_b64 s[2:3], s[26:27], 4
	s_add_u32 s6, s24, s2
	s_mul_i32 s5, s15, s4
	s_addc_u32 s15, s25, s3
	s_lshl_b64 s[2:3], s[18:19], 4
	s_add_u32 s16, s16, s2
	s_addc_u32 s17, s17, s3
	s_lshl_b64 s[2:3], s[10:11], 4
	s_add_u32 s8, s8, s2
	s_mul_hi_u32 s2, s14, s4
	s_addc_u32 s9, s9, s3
	s_add_i32 s3, s2, s5
	s_mul_i32 s2, s14, s4
	s_lshl_b64 s[2:3], s[2:3], 4
	s_add_u32 s2, s8, s2
	s_mul_i32 s5, s23, s4
	s_mul_hi_u32 s8, s22, s4
	s_addc_u32 s3, s9, s3
	s_add_i32 s9, s8, s5
	s_mul_i32 s8, s22, s4
	s_lshl_b64 s[8:9], s[8:9], 4
	s_add_u32 s8, s16, s8
	s_mul_i32 s5, s31, s4
	s_mul_hi_u32 s10, s30, s4
	v_lshl_add_u64 v[0:1], s[2:3], 0, v[4:5]
	s_load_dword s2, s[0:1], 0x74
	s_addc_u32 s9, s17, s9
	s_add_i32 s5, s10, s5
	s_mul_i32 s4, s30, s4
	s_lshl_b64 s[4:5], s[4:5], 4
	s_add_u32 s4, s6, s4
	v_mul_lo_u32 v7, s21, v2
	v_mul_lo_u32 v8, s20, v3
	v_mad_u64_u32 v[2:3], s[0:1], s20, v2, 0
	s_addc_u32 s5, s15, s5
	v_add3_u32 v3, v3, v8, v7
	v_lshl_add_u64 v[2:3], v[2:3], 4, s[8:9]
	v_lshl_add_u64 v[4:5], s[4:5], 0, v[4:5]
	s_waitcnt lgkmcnt(0)
	s_lshl_b32 s2, s2, 4
	s_mov_b64 s[0:1], 0
.LBB13_2:                               ; =>This Inner Loop Header: Depth=1
	v_ashrrev_i32_e32 v7, 31, v6
	v_mul_lo_u32 v14, s13, v6
	v_mad_u64_u32 v[12:13], s[4:5], s12, v6, 0
	v_mul_lo_u32 v15, s12, v7
	v_add3_u32 v13, v13, v15, v14
	v_lshl_add_u64 v[12:13], v[12:13], 4, v[0:1]
	global_load_dwordx4 v[8:11], v[2:3], off
	v_mul_lo_u32 v18, s29, v6
	global_load_dwordx4 v[12:15], v[12:13], off
	v_mad_u64_u32 v[16:17], s[4:5], s28, v6, 0
	v_mul_lo_u32 v7, s28, v7
	v_add_u32_e32 v6, s2, v6
	v_add3_u32 v17, v17, v7, v18
	v_cmp_le_i32_e32 vcc, s7, v6
	v_lshl_add_u64 v[18:19], v[16:17], 4, v[4:5]
	s_or_b64 s[0:1], vcc, s[0:1]
	s_waitcnt vmcnt(0)
	v_mul_f64 v[20:21], v[10:11], v[14:15]
	v_mul_f64 v[16:17], v[8:9], v[14:15]
	v_fma_f64 v[14:15], v[8:9], v[12:13], -v[20:21]
	v_fmac_f64_e32 v[16:17], v[10:11], v[12:13]
	global_store_dwordx4 v[18:19], v[14:17], off
	s_andn2_b64 exec, exec, s[0:1]
	s_cbranch_execnz .LBB13_2
.LBB13_3:
	s_endpgm
	.section	.rodata,"a",@progbits
	.p2align	6, 0x0
	.amdhsa_kernel _ZL19rocblas_dgmm_kernelILi16ELi16ELb0EPK19rocblas_complex_numIdEPS1_EviiT2_lllS5_lllT3_llli
		.amdhsa_group_segment_fixed_size 0
		.amdhsa_private_segment_fixed_size 0
		.amdhsa_kernarg_size 368
		.amdhsa_user_sgpr_count 2
		.amdhsa_user_sgpr_dispatch_ptr 0
		.amdhsa_user_sgpr_queue_ptr 0
		.amdhsa_user_sgpr_kernarg_segment_ptr 1
		.amdhsa_user_sgpr_dispatch_id 0
		.amdhsa_user_sgpr_kernarg_preload_length 0
		.amdhsa_user_sgpr_kernarg_preload_offset 0
		.amdhsa_user_sgpr_private_segment_size 0
		.amdhsa_uses_dynamic_stack 0
		.amdhsa_enable_private_segment 0
		.amdhsa_system_sgpr_workgroup_id_x 1
		.amdhsa_system_sgpr_workgroup_id_y 1
		.amdhsa_system_sgpr_workgroup_id_z 1
		.amdhsa_system_sgpr_workgroup_info 0
		.amdhsa_system_vgpr_workitem_id 1
		.amdhsa_next_free_vgpr 22
		.amdhsa_next_free_sgpr 32
		.amdhsa_accum_offset 24
		.amdhsa_reserve_vcc 1
		.amdhsa_float_round_mode_32 0
		.amdhsa_float_round_mode_16_64 0
		.amdhsa_float_denorm_mode_32 3
		.amdhsa_float_denorm_mode_16_64 3
		.amdhsa_dx10_clamp 1
		.amdhsa_ieee_mode 1
		.amdhsa_fp16_overflow 0
		.amdhsa_tg_split 0
		.amdhsa_exception_fp_ieee_invalid_op 0
		.amdhsa_exception_fp_denorm_src 0
		.amdhsa_exception_fp_ieee_div_zero 0
		.amdhsa_exception_fp_ieee_overflow 0
		.amdhsa_exception_fp_ieee_underflow 0
		.amdhsa_exception_fp_ieee_inexact 0
		.amdhsa_exception_int_div_zero 0
	.end_amdhsa_kernel
	.section	.text._ZL19rocblas_dgmm_kernelILi16ELi16ELb0EPK19rocblas_complex_numIdEPS1_EviiT2_lllS5_lllT3_llli,"axG",@progbits,_ZL19rocblas_dgmm_kernelILi16ELi16ELb0EPK19rocblas_complex_numIdEPS1_EviiT2_lllS5_lllT3_llli,comdat
.Lfunc_end13:
	.size	_ZL19rocblas_dgmm_kernelILi16ELi16ELb0EPK19rocblas_complex_numIdEPS1_EviiT2_lllS5_lllT3_llli, .Lfunc_end13-_ZL19rocblas_dgmm_kernelILi16ELi16ELb0EPK19rocblas_complex_numIdEPS1_EviiT2_lllS5_lllT3_llli
                                        ; -- End function
	.set _ZL19rocblas_dgmm_kernelILi16ELi16ELb0EPK19rocblas_complex_numIdEPS1_EviiT2_lllS5_lllT3_llli.num_vgpr, 22
	.set _ZL19rocblas_dgmm_kernelILi16ELi16ELb0EPK19rocblas_complex_numIdEPS1_EviiT2_lllS5_lllT3_llli.num_agpr, 0
	.set _ZL19rocblas_dgmm_kernelILi16ELi16ELb0EPK19rocblas_complex_numIdEPS1_EviiT2_lllS5_lllT3_llli.numbered_sgpr, 32
	.set _ZL19rocblas_dgmm_kernelILi16ELi16ELb0EPK19rocblas_complex_numIdEPS1_EviiT2_lllS5_lllT3_llli.num_named_barrier, 0
	.set _ZL19rocblas_dgmm_kernelILi16ELi16ELb0EPK19rocblas_complex_numIdEPS1_EviiT2_lllS5_lllT3_llli.private_seg_size, 0
	.set _ZL19rocblas_dgmm_kernelILi16ELi16ELb0EPK19rocblas_complex_numIdEPS1_EviiT2_lllS5_lllT3_llli.uses_vcc, 1
	.set _ZL19rocblas_dgmm_kernelILi16ELi16ELb0EPK19rocblas_complex_numIdEPS1_EviiT2_lllS5_lllT3_llli.uses_flat_scratch, 0
	.set _ZL19rocblas_dgmm_kernelILi16ELi16ELb0EPK19rocblas_complex_numIdEPS1_EviiT2_lllS5_lllT3_llli.has_dyn_sized_stack, 0
	.set _ZL19rocblas_dgmm_kernelILi16ELi16ELb0EPK19rocblas_complex_numIdEPS1_EviiT2_lllS5_lllT3_llli.has_recursion, 0
	.set _ZL19rocblas_dgmm_kernelILi16ELi16ELb0EPK19rocblas_complex_numIdEPS1_EviiT2_lllS5_lllT3_llli.has_indirect_call, 0
	.section	.AMDGPU.csdata,"",@progbits
; Kernel info:
; codeLenInByte = 460
; TotalNumSgprs: 38
; NumVgprs: 22
; NumAgprs: 0
; TotalNumVgprs: 22
; ScratchSize: 0
; MemoryBound: 0
; FloatMode: 240
; IeeeMode: 1
; LDSByteSize: 0 bytes/workgroup (compile time only)
; SGPRBlocks: 4
; VGPRBlocks: 2
; NumSGPRsForWavesPerEU: 38
; NumVGPRsForWavesPerEU: 22
; AccumOffset: 24
; Occupancy: 8
; WaveLimiterHint : 0
; COMPUTE_PGM_RSRC2:SCRATCH_EN: 0
; COMPUTE_PGM_RSRC2:USER_SGPR: 2
; COMPUTE_PGM_RSRC2:TRAP_HANDLER: 0
; COMPUTE_PGM_RSRC2:TGID_X_EN: 1
; COMPUTE_PGM_RSRC2:TGID_Y_EN: 1
; COMPUTE_PGM_RSRC2:TGID_Z_EN: 1
; COMPUTE_PGM_RSRC2:TIDIG_COMP_CNT: 1
; COMPUTE_PGM_RSRC3_GFX90A:ACCUM_OFFSET: 5
; COMPUTE_PGM_RSRC3_GFX90A:TG_SPLIT: 0
	.section	.text._ZL26rocblas_dgmm_gfx942_kernelILi32ELi32ELb1EPK19rocblas_complex_numIdEPS1_EviiT2_lllS5_lllT3_lll,"axG",@progbits,_ZL26rocblas_dgmm_gfx942_kernelILi32ELi32ELb1EPK19rocblas_complex_numIdEPS1_EviiT2_lllS5_lllT3_lll,comdat
	.globl	_ZL26rocblas_dgmm_gfx942_kernelILi32ELi32ELb1EPK19rocblas_complex_numIdEPS1_EviiT2_lllS5_lllT3_lll ; -- Begin function _ZL26rocblas_dgmm_gfx942_kernelILi32ELi32ELb1EPK19rocblas_complex_numIdEPS1_EviiT2_lllS5_lllT3_lll
	.p2align	8
	.type	_ZL26rocblas_dgmm_gfx942_kernelILi32ELi32ELb1EPK19rocblas_complex_numIdEPS1_EviiT2_lllS5_lllT3_lll,@function
_ZL26rocblas_dgmm_gfx942_kernelILi32ELi32ELb1EPK19rocblas_complex_numIdEPS1_EviiT2_lllS5_lllT3_lll: ; @_ZL26rocblas_dgmm_gfx942_kernelILi32ELi32ELb1EPK19rocblas_complex_numIdEPS1_EviiT2_lllS5_lllT3_lll
; %bb.0:
	s_endpgm
	.section	.rodata,"a",@progbits
	.p2align	6, 0x0
	.amdhsa_kernel _ZL26rocblas_dgmm_gfx942_kernelILi32ELi32ELb1EPK19rocblas_complex_numIdEPS1_EviiT2_lllS5_lllT3_lll
		.amdhsa_group_segment_fixed_size 0
		.amdhsa_private_segment_fixed_size 0
		.amdhsa_kernarg_size 104
		.amdhsa_user_sgpr_count 2
		.amdhsa_user_sgpr_dispatch_ptr 0
		.amdhsa_user_sgpr_queue_ptr 0
		.amdhsa_user_sgpr_kernarg_segment_ptr 1
		.amdhsa_user_sgpr_dispatch_id 0
		.amdhsa_user_sgpr_kernarg_preload_length 0
		.amdhsa_user_sgpr_kernarg_preload_offset 0
		.amdhsa_user_sgpr_private_segment_size 0
		.amdhsa_uses_dynamic_stack 0
		.amdhsa_enable_private_segment 0
		.amdhsa_system_sgpr_workgroup_id_x 1
		.amdhsa_system_sgpr_workgroup_id_y 0
		.amdhsa_system_sgpr_workgroup_id_z 0
		.amdhsa_system_sgpr_workgroup_info 0
		.amdhsa_system_vgpr_workitem_id 0
		.amdhsa_next_free_vgpr 1
		.amdhsa_next_free_sgpr 0
		.amdhsa_accum_offset 4
		.amdhsa_reserve_vcc 0
		.amdhsa_float_round_mode_32 0
		.amdhsa_float_round_mode_16_64 0
		.amdhsa_float_denorm_mode_32 3
		.amdhsa_float_denorm_mode_16_64 3
		.amdhsa_dx10_clamp 1
		.amdhsa_ieee_mode 1
		.amdhsa_fp16_overflow 0
		.amdhsa_tg_split 0
		.amdhsa_exception_fp_ieee_invalid_op 0
		.amdhsa_exception_fp_denorm_src 0
		.amdhsa_exception_fp_ieee_div_zero 0
		.amdhsa_exception_fp_ieee_overflow 0
		.amdhsa_exception_fp_ieee_underflow 0
		.amdhsa_exception_fp_ieee_inexact 0
		.amdhsa_exception_int_div_zero 0
	.end_amdhsa_kernel
	.section	.text._ZL26rocblas_dgmm_gfx942_kernelILi32ELi32ELb1EPK19rocblas_complex_numIdEPS1_EviiT2_lllS5_lllT3_lll,"axG",@progbits,_ZL26rocblas_dgmm_gfx942_kernelILi32ELi32ELb1EPK19rocblas_complex_numIdEPS1_EviiT2_lllS5_lllT3_lll,comdat
.Lfunc_end14:
	.size	_ZL26rocblas_dgmm_gfx942_kernelILi32ELi32ELb1EPK19rocblas_complex_numIdEPS1_EviiT2_lllS5_lllT3_lll, .Lfunc_end14-_ZL26rocblas_dgmm_gfx942_kernelILi32ELi32ELb1EPK19rocblas_complex_numIdEPS1_EviiT2_lllS5_lllT3_lll
                                        ; -- End function
	.set _ZL26rocblas_dgmm_gfx942_kernelILi32ELi32ELb1EPK19rocblas_complex_numIdEPS1_EviiT2_lllS5_lllT3_lll.num_vgpr, 0
	.set _ZL26rocblas_dgmm_gfx942_kernelILi32ELi32ELb1EPK19rocblas_complex_numIdEPS1_EviiT2_lllS5_lllT3_lll.num_agpr, 0
	.set _ZL26rocblas_dgmm_gfx942_kernelILi32ELi32ELb1EPK19rocblas_complex_numIdEPS1_EviiT2_lllS5_lllT3_lll.numbered_sgpr, 0
	.set _ZL26rocblas_dgmm_gfx942_kernelILi32ELi32ELb1EPK19rocblas_complex_numIdEPS1_EviiT2_lllS5_lllT3_lll.num_named_barrier, 0
	.set _ZL26rocblas_dgmm_gfx942_kernelILi32ELi32ELb1EPK19rocblas_complex_numIdEPS1_EviiT2_lllS5_lllT3_lll.private_seg_size, 0
	.set _ZL26rocblas_dgmm_gfx942_kernelILi32ELi32ELb1EPK19rocblas_complex_numIdEPS1_EviiT2_lllS5_lllT3_lll.uses_vcc, 0
	.set _ZL26rocblas_dgmm_gfx942_kernelILi32ELi32ELb1EPK19rocblas_complex_numIdEPS1_EviiT2_lllS5_lllT3_lll.uses_flat_scratch, 0
	.set _ZL26rocblas_dgmm_gfx942_kernelILi32ELi32ELb1EPK19rocblas_complex_numIdEPS1_EviiT2_lllS5_lllT3_lll.has_dyn_sized_stack, 0
	.set _ZL26rocblas_dgmm_gfx942_kernelILi32ELi32ELb1EPK19rocblas_complex_numIdEPS1_EviiT2_lllS5_lllT3_lll.has_recursion, 0
	.set _ZL26rocblas_dgmm_gfx942_kernelILi32ELi32ELb1EPK19rocblas_complex_numIdEPS1_EviiT2_lllS5_lllT3_lll.has_indirect_call, 0
	.section	.AMDGPU.csdata,"",@progbits
; Kernel info:
; codeLenInByte = 4
; TotalNumSgprs: 6
; NumVgprs: 0
; NumAgprs: 0
; TotalNumVgprs: 0
; ScratchSize: 0
; MemoryBound: 0
; FloatMode: 240
; IeeeMode: 1
; LDSByteSize: 0 bytes/workgroup (compile time only)
; SGPRBlocks: 0
; VGPRBlocks: 0
; NumSGPRsForWavesPerEU: 6
; NumVGPRsForWavesPerEU: 1
; AccumOffset: 4
; Occupancy: 8
; WaveLimiterHint : 0
; COMPUTE_PGM_RSRC2:SCRATCH_EN: 0
; COMPUTE_PGM_RSRC2:USER_SGPR: 2
; COMPUTE_PGM_RSRC2:TRAP_HANDLER: 0
; COMPUTE_PGM_RSRC2:TGID_X_EN: 1
; COMPUTE_PGM_RSRC2:TGID_Y_EN: 0
; COMPUTE_PGM_RSRC2:TGID_Z_EN: 0
; COMPUTE_PGM_RSRC2:TIDIG_COMP_CNT: 0
; COMPUTE_PGM_RSRC3_GFX90A:ACCUM_OFFSET: 0
; COMPUTE_PGM_RSRC3_GFX90A:TG_SPLIT: 0
	.section	.text._ZL19rocblas_dgmm_kernelILi16ELi16ELb1EPK19rocblas_complex_numIdEPS1_EviiT2_lllS5_lllT3_llli,"axG",@progbits,_ZL19rocblas_dgmm_kernelILi16ELi16ELb1EPK19rocblas_complex_numIdEPS1_EviiT2_lllS5_lllT3_llli,comdat
	.globl	_ZL19rocblas_dgmm_kernelILi16ELi16ELb1EPK19rocblas_complex_numIdEPS1_EviiT2_lllS5_lllT3_llli ; -- Begin function _ZL19rocblas_dgmm_kernelILi16ELi16ELb1EPK19rocblas_complex_numIdEPS1_EviiT2_lllS5_lllT3_llli
	.p2align	8
	.type	_ZL19rocblas_dgmm_kernelILi16ELi16ELb1EPK19rocblas_complex_numIdEPS1_EviiT2_lllS5_lllT3_llli,@function
_ZL19rocblas_dgmm_kernelILi16ELi16ELb1EPK19rocblas_complex_numIdEPS1_EviiT2_lllS5_lllT3_llli: ; @_ZL19rocblas_dgmm_kernelILi16ELi16ELb1EPK19rocblas_complex_numIdEPS1_EviiT2_lllS5_lllT3_llli
; %bb.0:
	s_load_dwordx2 s[6:7], s[0:1], 0x0
	v_and_b32_e32 v1, 0x3ff, v0
	v_bfe_u32 v0, v0, 10, 10
	v_lshl_add_u32 v2, s2, 4, v1
	v_lshl_add_u32 v4, s3, 4, v0
	s_waitcnt lgkmcnt(0)
	v_cmp_gt_i32_e32 vcc, s6, v2
	v_cmp_gt_i32_e64 s[2:3], s7, v4
	s_and_b64 s[2:3], vcc, s[2:3]
	s_and_saveexec_b64 s[8:9], s[2:3]
	s_cbranch_execz .LBB15_3
; %bb.1:
	s_load_dwordx8 s[24:31], s[0:1], 0x48
	s_load_dwordx16 s[8:23], s[0:1], 0x8
	v_ashrrev_i32_e32 v3, 31, v2
	s_load_dword s0, s[0:1], 0x74
	v_lshlrev_b64 v[2:3], 4, v[2:3]
	s_waitcnt lgkmcnt(0)
	s_lshl_b64 s[2:3], s[26:27], 4
	s_add_u32 s6, s24, s2
	s_mul_i32 s5, s15, s4
	s_addc_u32 s15, s25, s3
	s_lshl_b64 s[2:3], s[18:19], 4
	s_add_u32 s16, s16, s2
	s_addc_u32 s17, s17, s3
	s_lshl_b64 s[2:3], s[10:11], 4
	s_add_u32 s8, s8, s2
	s_mul_hi_u32 s2, s14, s4
	s_addc_u32 s9, s9, s3
	s_add_i32 s3, s2, s5
	s_mul_i32 s2, s14, s4
	s_lshl_b64 s[2:3], s[2:3], 4
	s_add_u32 s8, s8, s2
	s_addc_u32 s9, s9, s3
	s_mul_i32 s2, s23, s4
	s_mul_hi_u32 s3, s22, s4
	s_add_i32 s3, s3, s2
	s_mul_i32 s2, s22, s4
	s_lshl_b64 s[2:3], s[2:3], 4
	s_add_u32 s2, s16, s2
	s_mul_i32 s5, s31, s4
	s_mul_hi_u32 s10, s30, s4
	s_addc_u32 s3, s17, s3
	s_add_i32 s5, s10, s5
	s_mul_i32 s4, s30, s4
	s_lshl_b64 s[4:5], s[4:5], 4
	s_add_u32 s4, s6, s4
	s_addc_u32 s5, s15, s5
	v_lshl_add_u64 v[0:1], s[8:9], 0, v[2:3]
	v_lshl_add_u64 v[2:3], s[4:5], 0, v[2:3]
	s_lshl_b32 s4, s0, 4
	s_mov_b64 s[0:1], 0
.LBB15_2:                               ; =>This Inner Loop Header: Depth=1
	v_ashrrev_i32_e32 v5, 31, v4
	v_mul_lo_u32 v11, s21, v4
	v_mad_u64_u32 v[8:9], s[8:9], s20, v4, 0
	v_mul_lo_u32 v13, s20, v5
	v_mul_lo_u32 v10, s13, v4
	v_mad_u64_u32 v[6:7], s[8:9], s12, v4, 0
	v_mul_lo_u32 v12, s12, v5
	v_add3_u32 v9, v9, v13, v11
	v_add3_u32 v7, v7, v12, v10
	v_lshl_add_u64 v[16:17], v[8:9], 4, s[2:3]
	v_lshl_add_u64 v[14:15], v[6:7], 4, v[0:1]
	global_load_dwordx4 v[6:9], v[16:17], off
	global_load_dwordx4 v[10:13], v[14:15], off
	v_mul_lo_u32 v16, s29, v4
	v_mad_u64_u32 v[14:15], s[8:9], s28, v4, 0
	v_mul_lo_u32 v5, s28, v5
	v_add_u32_e32 v4, s4, v4
	v_add3_u32 v15, v15, v5, v16
	v_cmp_le_i32_e32 vcc, s7, v4
	v_lshl_add_u64 v[16:17], v[14:15], 4, v[2:3]
	s_or_b64 s[0:1], vcc, s[0:1]
	s_waitcnt vmcnt(0)
	v_mul_f64 v[18:19], v[8:9], v[12:13]
	v_mul_f64 v[14:15], v[6:7], v[12:13]
	v_fma_f64 v[12:13], v[6:7], v[10:11], -v[18:19]
	v_fmac_f64_e32 v[14:15], v[8:9], v[10:11]
	global_store_dwordx4 v[16:17], v[12:15], off
	s_andn2_b64 exec, exec, s[0:1]
	s_cbranch_execnz .LBB15_2
.LBB15_3:
	s_endpgm
	.section	.rodata,"a",@progbits
	.p2align	6, 0x0
	.amdhsa_kernel _ZL19rocblas_dgmm_kernelILi16ELi16ELb1EPK19rocblas_complex_numIdEPS1_EviiT2_lllS5_lllT3_llli
		.amdhsa_group_segment_fixed_size 0
		.amdhsa_private_segment_fixed_size 0
		.amdhsa_kernarg_size 368
		.amdhsa_user_sgpr_count 2
		.amdhsa_user_sgpr_dispatch_ptr 0
		.amdhsa_user_sgpr_queue_ptr 0
		.amdhsa_user_sgpr_kernarg_segment_ptr 1
		.amdhsa_user_sgpr_dispatch_id 0
		.amdhsa_user_sgpr_kernarg_preload_length 0
		.amdhsa_user_sgpr_kernarg_preload_offset 0
		.amdhsa_user_sgpr_private_segment_size 0
		.amdhsa_uses_dynamic_stack 0
		.amdhsa_enable_private_segment 0
		.amdhsa_system_sgpr_workgroup_id_x 1
		.amdhsa_system_sgpr_workgroup_id_y 1
		.amdhsa_system_sgpr_workgroup_id_z 1
		.amdhsa_system_sgpr_workgroup_info 0
		.amdhsa_system_vgpr_workitem_id 1
		.amdhsa_next_free_vgpr 20
		.amdhsa_next_free_sgpr 32
		.amdhsa_accum_offset 20
		.amdhsa_reserve_vcc 1
		.amdhsa_float_round_mode_32 0
		.amdhsa_float_round_mode_16_64 0
		.amdhsa_float_denorm_mode_32 3
		.amdhsa_float_denorm_mode_16_64 3
		.amdhsa_dx10_clamp 1
		.amdhsa_ieee_mode 1
		.amdhsa_fp16_overflow 0
		.amdhsa_tg_split 0
		.amdhsa_exception_fp_ieee_invalid_op 0
		.amdhsa_exception_fp_denorm_src 0
		.amdhsa_exception_fp_ieee_div_zero 0
		.amdhsa_exception_fp_ieee_overflow 0
		.amdhsa_exception_fp_ieee_underflow 0
		.amdhsa_exception_fp_ieee_inexact 0
		.amdhsa_exception_int_div_zero 0
	.end_amdhsa_kernel
	.section	.text._ZL19rocblas_dgmm_kernelILi16ELi16ELb1EPK19rocblas_complex_numIdEPS1_EviiT2_lllS5_lllT3_llli,"axG",@progbits,_ZL19rocblas_dgmm_kernelILi16ELi16ELb1EPK19rocblas_complex_numIdEPS1_EviiT2_lllS5_lllT3_llli,comdat
.Lfunc_end15:
	.size	_ZL19rocblas_dgmm_kernelILi16ELi16ELb1EPK19rocblas_complex_numIdEPS1_EviiT2_lllS5_lllT3_llli, .Lfunc_end15-_ZL19rocblas_dgmm_kernelILi16ELi16ELb1EPK19rocblas_complex_numIdEPS1_EviiT2_lllS5_lllT3_llli
                                        ; -- End function
	.set _ZL19rocblas_dgmm_kernelILi16ELi16ELb1EPK19rocblas_complex_numIdEPS1_EviiT2_lllS5_lllT3_llli.num_vgpr, 20
	.set _ZL19rocblas_dgmm_kernelILi16ELi16ELb1EPK19rocblas_complex_numIdEPS1_EviiT2_lllS5_lllT3_llli.num_agpr, 0
	.set _ZL19rocblas_dgmm_kernelILi16ELi16ELb1EPK19rocblas_complex_numIdEPS1_EviiT2_lllS5_lllT3_llli.numbered_sgpr, 32
	.set _ZL19rocblas_dgmm_kernelILi16ELi16ELb1EPK19rocblas_complex_numIdEPS1_EviiT2_lllS5_lllT3_llli.num_named_barrier, 0
	.set _ZL19rocblas_dgmm_kernelILi16ELi16ELb1EPK19rocblas_complex_numIdEPS1_EviiT2_lllS5_lllT3_llli.private_seg_size, 0
	.set _ZL19rocblas_dgmm_kernelILi16ELi16ELb1EPK19rocblas_complex_numIdEPS1_EviiT2_lllS5_lllT3_llli.uses_vcc, 1
	.set _ZL19rocblas_dgmm_kernelILi16ELi16ELb1EPK19rocblas_complex_numIdEPS1_EviiT2_lllS5_lllT3_llli.uses_flat_scratch, 0
	.set _ZL19rocblas_dgmm_kernelILi16ELi16ELb1EPK19rocblas_complex_numIdEPS1_EviiT2_lllS5_lllT3_llli.has_dyn_sized_stack, 0
	.set _ZL19rocblas_dgmm_kernelILi16ELi16ELb1EPK19rocblas_complex_numIdEPS1_EviiT2_lllS5_lllT3_llli.has_recursion, 0
	.set _ZL19rocblas_dgmm_kernelILi16ELi16ELb1EPK19rocblas_complex_numIdEPS1_EviiT2_lllS5_lllT3_llli.has_indirect_call, 0
	.section	.AMDGPU.csdata,"",@progbits
; Kernel info:
; codeLenInByte = 456
; TotalNumSgprs: 38
; NumVgprs: 20
; NumAgprs: 0
; TotalNumVgprs: 20
; ScratchSize: 0
; MemoryBound: 0
; FloatMode: 240
; IeeeMode: 1
; LDSByteSize: 0 bytes/workgroup (compile time only)
; SGPRBlocks: 4
; VGPRBlocks: 2
; NumSGPRsForWavesPerEU: 38
; NumVGPRsForWavesPerEU: 20
; AccumOffset: 20
; Occupancy: 8
; WaveLimiterHint : 0
; COMPUTE_PGM_RSRC2:SCRATCH_EN: 0
; COMPUTE_PGM_RSRC2:USER_SGPR: 2
; COMPUTE_PGM_RSRC2:TRAP_HANDLER: 0
; COMPUTE_PGM_RSRC2:TGID_X_EN: 1
; COMPUTE_PGM_RSRC2:TGID_Y_EN: 1
; COMPUTE_PGM_RSRC2:TGID_Z_EN: 1
; COMPUTE_PGM_RSRC2:TIDIG_COMP_CNT: 1
; COMPUTE_PGM_RSRC3_GFX90A:ACCUM_OFFSET: 4
; COMPUTE_PGM_RSRC3_GFX90A:TG_SPLIT: 0
	.section	.text._ZL26rocblas_dgmm_gfx942_kernelILi32ELi32ELb0EPKPKfPKPfEviiT2_lllS7_lllT3_lll,"axG",@progbits,_ZL26rocblas_dgmm_gfx942_kernelILi32ELi32ELb0EPKPKfPKPfEviiT2_lllS7_lllT3_lll,comdat
	.globl	_ZL26rocblas_dgmm_gfx942_kernelILi32ELi32ELb0EPKPKfPKPfEviiT2_lllS7_lllT3_lll ; -- Begin function _ZL26rocblas_dgmm_gfx942_kernelILi32ELi32ELb0EPKPKfPKPfEviiT2_lllS7_lllT3_lll
	.p2align	8
	.type	_ZL26rocblas_dgmm_gfx942_kernelILi32ELi32ELb0EPKPKfPKPfEviiT2_lllS7_lllT3_lll,@function
_ZL26rocblas_dgmm_gfx942_kernelILi32ELi32ELb0EPKPKfPKPfEviiT2_lllS7_lllT3_lll: ; @_ZL26rocblas_dgmm_gfx942_kernelILi32ELi32ELb0EPKPKfPKPfEviiT2_lllS7_lllT3_lll
; %bb.0:
	s_endpgm
	.section	.rodata,"a",@progbits
	.p2align	6, 0x0
	.amdhsa_kernel _ZL26rocblas_dgmm_gfx942_kernelILi32ELi32ELb0EPKPKfPKPfEviiT2_lllS7_lllT3_lll
		.amdhsa_group_segment_fixed_size 0
		.amdhsa_private_segment_fixed_size 0
		.amdhsa_kernarg_size 104
		.amdhsa_user_sgpr_count 2
		.amdhsa_user_sgpr_dispatch_ptr 0
		.amdhsa_user_sgpr_queue_ptr 0
		.amdhsa_user_sgpr_kernarg_segment_ptr 1
		.amdhsa_user_sgpr_dispatch_id 0
		.amdhsa_user_sgpr_kernarg_preload_length 0
		.amdhsa_user_sgpr_kernarg_preload_offset 0
		.amdhsa_user_sgpr_private_segment_size 0
		.amdhsa_uses_dynamic_stack 0
		.amdhsa_enable_private_segment 0
		.amdhsa_system_sgpr_workgroup_id_x 1
		.amdhsa_system_sgpr_workgroup_id_y 0
		.amdhsa_system_sgpr_workgroup_id_z 0
		.amdhsa_system_sgpr_workgroup_info 0
		.amdhsa_system_vgpr_workitem_id 0
		.amdhsa_next_free_vgpr 1
		.amdhsa_next_free_sgpr 0
		.amdhsa_accum_offset 4
		.amdhsa_reserve_vcc 0
		.amdhsa_float_round_mode_32 0
		.amdhsa_float_round_mode_16_64 0
		.amdhsa_float_denorm_mode_32 3
		.amdhsa_float_denorm_mode_16_64 3
		.amdhsa_dx10_clamp 1
		.amdhsa_ieee_mode 1
		.amdhsa_fp16_overflow 0
		.amdhsa_tg_split 0
		.amdhsa_exception_fp_ieee_invalid_op 0
		.amdhsa_exception_fp_denorm_src 0
		.amdhsa_exception_fp_ieee_div_zero 0
		.amdhsa_exception_fp_ieee_overflow 0
		.amdhsa_exception_fp_ieee_underflow 0
		.amdhsa_exception_fp_ieee_inexact 0
		.amdhsa_exception_int_div_zero 0
	.end_amdhsa_kernel
	.section	.text._ZL26rocblas_dgmm_gfx942_kernelILi32ELi32ELb0EPKPKfPKPfEviiT2_lllS7_lllT3_lll,"axG",@progbits,_ZL26rocblas_dgmm_gfx942_kernelILi32ELi32ELb0EPKPKfPKPfEviiT2_lllS7_lllT3_lll,comdat
.Lfunc_end16:
	.size	_ZL26rocblas_dgmm_gfx942_kernelILi32ELi32ELb0EPKPKfPKPfEviiT2_lllS7_lllT3_lll, .Lfunc_end16-_ZL26rocblas_dgmm_gfx942_kernelILi32ELi32ELb0EPKPKfPKPfEviiT2_lllS7_lllT3_lll
                                        ; -- End function
	.set _ZL26rocblas_dgmm_gfx942_kernelILi32ELi32ELb0EPKPKfPKPfEviiT2_lllS7_lllT3_lll.num_vgpr, 0
	.set _ZL26rocblas_dgmm_gfx942_kernelILi32ELi32ELb0EPKPKfPKPfEviiT2_lllS7_lllT3_lll.num_agpr, 0
	.set _ZL26rocblas_dgmm_gfx942_kernelILi32ELi32ELb0EPKPKfPKPfEviiT2_lllS7_lllT3_lll.numbered_sgpr, 0
	.set _ZL26rocblas_dgmm_gfx942_kernelILi32ELi32ELb0EPKPKfPKPfEviiT2_lllS7_lllT3_lll.num_named_barrier, 0
	.set _ZL26rocblas_dgmm_gfx942_kernelILi32ELi32ELb0EPKPKfPKPfEviiT2_lllS7_lllT3_lll.private_seg_size, 0
	.set _ZL26rocblas_dgmm_gfx942_kernelILi32ELi32ELb0EPKPKfPKPfEviiT2_lllS7_lllT3_lll.uses_vcc, 0
	.set _ZL26rocblas_dgmm_gfx942_kernelILi32ELi32ELb0EPKPKfPKPfEviiT2_lllS7_lllT3_lll.uses_flat_scratch, 0
	.set _ZL26rocblas_dgmm_gfx942_kernelILi32ELi32ELb0EPKPKfPKPfEviiT2_lllS7_lllT3_lll.has_dyn_sized_stack, 0
	.set _ZL26rocblas_dgmm_gfx942_kernelILi32ELi32ELb0EPKPKfPKPfEviiT2_lllS7_lllT3_lll.has_recursion, 0
	.set _ZL26rocblas_dgmm_gfx942_kernelILi32ELi32ELb0EPKPKfPKPfEviiT2_lllS7_lllT3_lll.has_indirect_call, 0
	.section	.AMDGPU.csdata,"",@progbits
; Kernel info:
; codeLenInByte = 4
; TotalNumSgprs: 6
; NumVgprs: 0
; NumAgprs: 0
; TotalNumVgprs: 0
; ScratchSize: 0
; MemoryBound: 0
; FloatMode: 240
; IeeeMode: 1
; LDSByteSize: 0 bytes/workgroup (compile time only)
; SGPRBlocks: 0
; VGPRBlocks: 0
; NumSGPRsForWavesPerEU: 6
; NumVGPRsForWavesPerEU: 1
; AccumOffset: 4
; Occupancy: 8
; WaveLimiterHint : 0
; COMPUTE_PGM_RSRC2:SCRATCH_EN: 0
; COMPUTE_PGM_RSRC2:USER_SGPR: 2
; COMPUTE_PGM_RSRC2:TRAP_HANDLER: 0
; COMPUTE_PGM_RSRC2:TGID_X_EN: 1
; COMPUTE_PGM_RSRC2:TGID_Y_EN: 0
; COMPUTE_PGM_RSRC2:TGID_Z_EN: 0
; COMPUTE_PGM_RSRC2:TIDIG_COMP_CNT: 0
; COMPUTE_PGM_RSRC3_GFX90A:ACCUM_OFFSET: 0
; COMPUTE_PGM_RSRC3_GFX90A:TG_SPLIT: 0
	.section	.text._ZL19rocblas_dgmm_kernelILi16ELi16ELb0EPKPKfPKPfEviiT2_lllS7_lllT3_llli,"axG",@progbits,_ZL19rocblas_dgmm_kernelILi16ELi16ELb0EPKPKfPKPfEviiT2_lllS7_lllT3_llli,comdat
	.globl	_ZL19rocblas_dgmm_kernelILi16ELi16ELb0EPKPKfPKPfEviiT2_lllS7_lllT3_llli ; -- Begin function _ZL19rocblas_dgmm_kernelILi16ELi16ELb0EPKPKfPKPfEviiT2_lllS7_lllT3_llli
	.p2align	8
	.type	_ZL19rocblas_dgmm_kernelILi16ELi16ELb0EPKPKfPKPfEviiT2_lllS7_lllT3_llli,@function
_ZL19rocblas_dgmm_kernelILi16ELi16ELb0EPKPKfPKPfEviiT2_lllS7_lllT3_llli: ; @_ZL19rocblas_dgmm_kernelILi16ELi16ELb0EPKPKfPKPfEviiT2_lllS7_lllT3_llli
; %bb.0:
	s_load_dwordx2 s[8:9], s[0:1], 0x0
	v_and_b32_e32 v1, 0x3ff, v0
	v_bfe_u32 v0, v0, 10, 10
	v_lshl_add_u32 v2, s2, 4, v1
	v_lshl_add_u32 v6, s3, 4, v0
	s_waitcnt lgkmcnt(0)
	v_cmp_gt_i32_e32 vcc, s8, v2
	v_cmp_gt_i32_e64 s[2:3], s9, v6
	s_and_b64 s[2:3], vcc, s[2:3]
	s_and_saveexec_b64 s[6:7], s[2:3]
	s_cbranch_execz .LBB17_3
; %bb.1:
	s_load_dwordx4 s[12:15], s[0:1], 0x8
	s_load_dwordx2 s[2:3], s[0:1], 0x18
	s_mov_b32 s5, 0
	s_lshl_b64 s[20:21], s[4:5], 3
	v_ashrrev_i32_e32 v3, 31, v2
	s_waitcnt lgkmcnt(0)
	s_add_u32 s12, s12, s20
	s_addc_u32 s13, s13, s21
	s_load_dwordx2 s[22:23], s[12:13], 0x0
	s_load_dwordx4 s[16:19], s[0:1], 0x28
	s_load_dwordx2 s[24:25], s[0:1], 0x38
	s_load_dwordx2 s[10:11], s[0:1], 0x58
	s_load_dwordx4 s[4:7], s[0:1], 0x48
	s_lshl_b64 s[12:13], s[14:15], 2
	s_waitcnt lgkmcnt(0)
	s_add_u32 s12, s22, s12
	s_addc_u32 s13, s23, s13
	s_add_u32 s14, s16, s20
	s_addc_u32 s15, s17, s21
	s_load_dwordx2 s[14:15], s[14:15], 0x0
	v_lshlrev_b64 v[4:5], 2, v[2:3]
	s_load_dword s8, s[0:1], 0x74
	s_lshl_b64 s[0:1], s[18:19], 2
	v_mul_lo_u32 v7, s25, v2
	s_waitcnt lgkmcnt(0)
	s_add_u32 s0, s14, s0
	s_addc_u32 s1, s15, s1
	s_add_u32 s4, s4, s20
	s_addc_u32 s5, s5, s21
	s_load_dwordx2 s[4:5], s[4:5], 0x0
	s_lshl_b64 s[6:7], s[6:7], 2
	v_mul_lo_u32 v8, s24, v3
	v_lshl_add_u64 v[0:1], s[12:13], 0, v[4:5]
	s_waitcnt lgkmcnt(0)
	s_add_u32 s4, s4, s6
	s_addc_u32 s5, s5, s7
	v_mad_u64_u32 v[2:3], s[6:7], s24, v2, 0
	v_add3_u32 v3, v3, v8, v7
	v_lshl_add_u64 v[2:3], v[2:3], 2, s[0:1]
	v_lshl_add_u64 v[4:5], s[4:5], 0, v[4:5]
	s_lshl_b32 s4, s8, 4
	s_mov_b64 s[0:1], 0
.LBB17_2:                               ; =>This Inner Loop Header: Depth=1
	v_ashrrev_i32_e32 v7, 31, v6
	v_mul_lo_u32 v10, s3, v6
	v_mad_u64_u32 v[8:9], s[6:7], s2, v6, 0
	v_mul_lo_u32 v12, s2, v7
	v_add3_u32 v9, v9, v12, v10
	v_lshl_add_u64 v[8:9], v[8:9], 2, v[0:1]
	flat_load_dword v11, v[2:3]
	flat_load_dword v10, v[8:9]
	v_mul_lo_u32 v12, s11, v6
	v_mad_u64_u32 v[8:9], s[6:7], s10, v6, 0
	v_add_u32_e32 v6, s4, v6
	v_mul_lo_u32 v7, s10, v7
	v_cmp_le_i32_e32 vcc, s9, v6
	v_add3_u32 v9, v9, v7, v12
	s_or_b64 s[0:1], vcc, s[0:1]
	v_lshl_add_u64 v[8:9], v[8:9], 2, v[4:5]
	s_waitcnt vmcnt(0) lgkmcnt(0)
	v_mul_f32_e32 v7, v10, v11
	flat_store_dword v[8:9], v7
	s_andn2_b64 exec, exec, s[0:1]
	s_cbranch_execnz .LBB17_2
.LBB17_3:
	s_endpgm
	.section	.rodata,"a",@progbits
	.p2align	6, 0x0
	.amdhsa_kernel _ZL19rocblas_dgmm_kernelILi16ELi16ELb0EPKPKfPKPfEviiT2_lllS7_lllT3_llli
		.amdhsa_group_segment_fixed_size 0
		.amdhsa_private_segment_fixed_size 0
		.amdhsa_kernarg_size 368
		.amdhsa_user_sgpr_count 2
		.amdhsa_user_sgpr_dispatch_ptr 0
		.amdhsa_user_sgpr_queue_ptr 0
		.amdhsa_user_sgpr_kernarg_segment_ptr 1
		.amdhsa_user_sgpr_dispatch_id 0
		.amdhsa_user_sgpr_kernarg_preload_length 0
		.amdhsa_user_sgpr_kernarg_preload_offset 0
		.amdhsa_user_sgpr_private_segment_size 0
		.amdhsa_uses_dynamic_stack 0
		.amdhsa_enable_private_segment 0
		.amdhsa_system_sgpr_workgroup_id_x 1
		.amdhsa_system_sgpr_workgroup_id_y 1
		.amdhsa_system_sgpr_workgroup_id_z 1
		.amdhsa_system_sgpr_workgroup_info 0
		.amdhsa_system_vgpr_workitem_id 1
		.amdhsa_next_free_vgpr 13
		.amdhsa_next_free_sgpr 26
		.amdhsa_accum_offset 16
		.amdhsa_reserve_vcc 1
		.amdhsa_float_round_mode_32 0
		.amdhsa_float_round_mode_16_64 0
		.amdhsa_float_denorm_mode_32 3
		.amdhsa_float_denorm_mode_16_64 3
		.amdhsa_dx10_clamp 1
		.amdhsa_ieee_mode 1
		.amdhsa_fp16_overflow 0
		.amdhsa_tg_split 0
		.amdhsa_exception_fp_ieee_invalid_op 0
		.amdhsa_exception_fp_denorm_src 0
		.amdhsa_exception_fp_ieee_div_zero 0
		.amdhsa_exception_fp_ieee_overflow 0
		.amdhsa_exception_fp_ieee_underflow 0
		.amdhsa_exception_fp_ieee_inexact 0
		.amdhsa_exception_int_div_zero 0
	.end_amdhsa_kernel
	.section	.text._ZL19rocblas_dgmm_kernelILi16ELi16ELb0EPKPKfPKPfEviiT2_lllS7_lllT3_llli,"axG",@progbits,_ZL19rocblas_dgmm_kernelILi16ELi16ELb0EPKPKfPKPfEviiT2_lllS7_lllT3_llli,comdat
.Lfunc_end17:
	.size	_ZL19rocblas_dgmm_kernelILi16ELi16ELb0EPKPKfPKPfEviiT2_lllS7_lllT3_llli, .Lfunc_end17-_ZL19rocblas_dgmm_kernelILi16ELi16ELb0EPKPKfPKPfEviiT2_lllS7_lllT3_llli
                                        ; -- End function
	.set _ZL19rocblas_dgmm_kernelILi16ELi16ELb0EPKPKfPKPfEviiT2_lllS7_lllT3_llli.num_vgpr, 13
	.set _ZL19rocblas_dgmm_kernelILi16ELi16ELb0EPKPKfPKPfEviiT2_lllS7_lllT3_llli.num_agpr, 0
	.set _ZL19rocblas_dgmm_kernelILi16ELi16ELb0EPKPKfPKPfEviiT2_lllS7_lllT3_llli.numbered_sgpr, 26
	.set _ZL19rocblas_dgmm_kernelILi16ELi16ELb0EPKPKfPKPfEviiT2_lllS7_lllT3_llli.num_named_barrier, 0
	.set _ZL19rocblas_dgmm_kernelILi16ELi16ELb0EPKPKfPKPfEviiT2_lllS7_lllT3_llli.private_seg_size, 0
	.set _ZL19rocblas_dgmm_kernelILi16ELi16ELb0EPKPKfPKPfEviiT2_lllS7_lllT3_llli.uses_vcc, 1
	.set _ZL19rocblas_dgmm_kernelILi16ELi16ELb0EPKPKfPKPfEviiT2_lllS7_lllT3_llli.uses_flat_scratch, 0
	.set _ZL19rocblas_dgmm_kernelILi16ELi16ELb0EPKPKfPKPfEviiT2_lllS7_lllT3_llli.has_dyn_sized_stack, 0
	.set _ZL19rocblas_dgmm_kernelILi16ELi16ELb0EPKPKfPKPfEviiT2_lllS7_lllT3_llli.has_recursion, 0
	.set _ZL19rocblas_dgmm_kernelILi16ELi16ELb0EPKPKfPKPfEviiT2_lllS7_lllT3_llli.has_indirect_call, 0
	.section	.AMDGPU.csdata,"",@progbits
; Kernel info:
; codeLenInByte = 448
; TotalNumSgprs: 32
; NumVgprs: 13
; NumAgprs: 0
; TotalNumVgprs: 13
; ScratchSize: 0
; MemoryBound: 0
; FloatMode: 240
; IeeeMode: 1
; LDSByteSize: 0 bytes/workgroup (compile time only)
; SGPRBlocks: 3
; VGPRBlocks: 1
; NumSGPRsForWavesPerEU: 32
; NumVGPRsForWavesPerEU: 13
; AccumOffset: 16
; Occupancy: 8
; WaveLimiterHint : 1
; COMPUTE_PGM_RSRC2:SCRATCH_EN: 0
; COMPUTE_PGM_RSRC2:USER_SGPR: 2
; COMPUTE_PGM_RSRC2:TRAP_HANDLER: 0
; COMPUTE_PGM_RSRC2:TGID_X_EN: 1
; COMPUTE_PGM_RSRC2:TGID_Y_EN: 1
; COMPUTE_PGM_RSRC2:TGID_Z_EN: 1
; COMPUTE_PGM_RSRC2:TIDIG_COMP_CNT: 1
; COMPUTE_PGM_RSRC3_GFX90A:ACCUM_OFFSET: 3
; COMPUTE_PGM_RSRC3_GFX90A:TG_SPLIT: 0
	.section	.text._ZL26rocblas_dgmm_gfx942_kernelILi32ELi32ELb1EPKPKfPKPfEviiT2_lllS7_lllT3_lll,"axG",@progbits,_ZL26rocblas_dgmm_gfx942_kernelILi32ELi32ELb1EPKPKfPKPfEviiT2_lllS7_lllT3_lll,comdat
	.globl	_ZL26rocblas_dgmm_gfx942_kernelILi32ELi32ELb1EPKPKfPKPfEviiT2_lllS7_lllT3_lll ; -- Begin function _ZL26rocblas_dgmm_gfx942_kernelILi32ELi32ELb1EPKPKfPKPfEviiT2_lllS7_lllT3_lll
	.p2align	8
	.type	_ZL26rocblas_dgmm_gfx942_kernelILi32ELi32ELb1EPKPKfPKPfEviiT2_lllS7_lllT3_lll,@function
_ZL26rocblas_dgmm_gfx942_kernelILi32ELi32ELb1EPKPKfPKPfEviiT2_lllS7_lllT3_lll: ; @_ZL26rocblas_dgmm_gfx942_kernelILi32ELi32ELb1EPKPKfPKPfEviiT2_lllS7_lllT3_lll
; %bb.0:
	s_endpgm
	.section	.rodata,"a",@progbits
	.p2align	6, 0x0
	.amdhsa_kernel _ZL26rocblas_dgmm_gfx942_kernelILi32ELi32ELb1EPKPKfPKPfEviiT2_lllS7_lllT3_lll
		.amdhsa_group_segment_fixed_size 0
		.amdhsa_private_segment_fixed_size 0
		.amdhsa_kernarg_size 104
		.amdhsa_user_sgpr_count 2
		.amdhsa_user_sgpr_dispatch_ptr 0
		.amdhsa_user_sgpr_queue_ptr 0
		.amdhsa_user_sgpr_kernarg_segment_ptr 1
		.amdhsa_user_sgpr_dispatch_id 0
		.amdhsa_user_sgpr_kernarg_preload_length 0
		.amdhsa_user_sgpr_kernarg_preload_offset 0
		.amdhsa_user_sgpr_private_segment_size 0
		.amdhsa_uses_dynamic_stack 0
		.amdhsa_enable_private_segment 0
		.amdhsa_system_sgpr_workgroup_id_x 1
		.amdhsa_system_sgpr_workgroup_id_y 0
		.amdhsa_system_sgpr_workgroup_id_z 0
		.amdhsa_system_sgpr_workgroup_info 0
		.amdhsa_system_vgpr_workitem_id 0
		.amdhsa_next_free_vgpr 1
		.amdhsa_next_free_sgpr 0
		.amdhsa_accum_offset 4
		.amdhsa_reserve_vcc 0
		.amdhsa_float_round_mode_32 0
		.amdhsa_float_round_mode_16_64 0
		.amdhsa_float_denorm_mode_32 3
		.amdhsa_float_denorm_mode_16_64 3
		.amdhsa_dx10_clamp 1
		.amdhsa_ieee_mode 1
		.amdhsa_fp16_overflow 0
		.amdhsa_tg_split 0
		.amdhsa_exception_fp_ieee_invalid_op 0
		.amdhsa_exception_fp_denorm_src 0
		.amdhsa_exception_fp_ieee_div_zero 0
		.amdhsa_exception_fp_ieee_overflow 0
		.amdhsa_exception_fp_ieee_underflow 0
		.amdhsa_exception_fp_ieee_inexact 0
		.amdhsa_exception_int_div_zero 0
	.end_amdhsa_kernel
	.section	.text._ZL26rocblas_dgmm_gfx942_kernelILi32ELi32ELb1EPKPKfPKPfEviiT2_lllS7_lllT3_lll,"axG",@progbits,_ZL26rocblas_dgmm_gfx942_kernelILi32ELi32ELb1EPKPKfPKPfEviiT2_lllS7_lllT3_lll,comdat
.Lfunc_end18:
	.size	_ZL26rocblas_dgmm_gfx942_kernelILi32ELi32ELb1EPKPKfPKPfEviiT2_lllS7_lllT3_lll, .Lfunc_end18-_ZL26rocblas_dgmm_gfx942_kernelILi32ELi32ELb1EPKPKfPKPfEviiT2_lllS7_lllT3_lll
                                        ; -- End function
	.set _ZL26rocblas_dgmm_gfx942_kernelILi32ELi32ELb1EPKPKfPKPfEviiT2_lllS7_lllT3_lll.num_vgpr, 0
	.set _ZL26rocblas_dgmm_gfx942_kernelILi32ELi32ELb1EPKPKfPKPfEviiT2_lllS7_lllT3_lll.num_agpr, 0
	.set _ZL26rocblas_dgmm_gfx942_kernelILi32ELi32ELb1EPKPKfPKPfEviiT2_lllS7_lllT3_lll.numbered_sgpr, 0
	.set _ZL26rocblas_dgmm_gfx942_kernelILi32ELi32ELb1EPKPKfPKPfEviiT2_lllS7_lllT3_lll.num_named_barrier, 0
	.set _ZL26rocblas_dgmm_gfx942_kernelILi32ELi32ELb1EPKPKfPKPfEviiT2_lllS7_lllT3_lll.private_seg_size, 0
	.set _ZL26rocblas_dgmm_gfx942_kernelILi32ELi32ELb1EPKPKfPKPfEviiT2_lllS7_lllT3_lll.uses_vcc, 0
	.set _ZL26rocblas_dgmm_gfx942_kernelILi32ELi32ELb1EPKPKfPKPfEviiT2_lllS7_lllT3_lll.uses_flat_scratch, 0
	.set _ZL26rocblas_dgmm_gfx942_kernelILi32ELi32ELb1EPKPKfPKPfEviiT2_lllS7_lllT3_lll.has_dyn_sized_stack, 0
	.set _ZL26rocblas_dgmm_gfx942_kernelILi32ELi32ELb1EPKPKfPKPfEviiT2_lllS7_lllT3_lll.has_recursion, 0
	.set _ZL26rocblas_dgmm_gfx942_kernelILi32ELi32ELb1EPKPKfPKPfEviiT2_lllS7_lllT3_lll.has_indirect_call, 0
	.section	.AMDGPU.csdata,"",@progbits
; Kernel info:
; codeLenInByte = 4
; TotalNumSgprs: 6
; NumVgprs: 0
; NumAgprs: 0
; TotalNumVgprs: 0
; ScratchSize: 0
; MemoryBound: 0
; FloatMode: 240
; IeeeMode: 1
; LDSByteSize: 0 bytes/workgroup (compile time only)
; SGPRBlocks: 0
; VGPRBlocks: 0
; NumSGPRsForWavesPerEU: 6
; NumVGPRsForWavesPerEU: 1
; AccumOffset: 4
; Occupancy: 8
; WaveLimiterHint : 0
; COMPUTE_PGM_RSRC2:SCRATCH_EN: 0
; COMPUTE_PGM_RSRC2:USER_SGPR: 2
; COMPUTE_PGM_RSRC2:TRAP_HANDLER: 0
; COMPUTE_PGM_RSRC2:TGID_X_EN: 1
; COMPUTE_PGM_RSRC2:TGID_Y_EN: 0
; COMPUTE_PGM_RSRC2:TGID_Z_EN: 0
; COMPUTE_PGM_RSRC2:TIDIG_COMP_CNT: 0
; COMPUTE_PGM_RSRC3_GFX90A:ACCUM_OFFSET: 0
; COMPUTE_PGM_RSRC3_GFX90A:TG_SPLIT: 0
	.section	.text._ZL19rocblas_dgmm_kernelILi16ELi16ELb1EPKPKfPKPfEviiT2_lllS7_lllT3_llli,"axG",@progbits,_ZL19rocblas_dgmm_kernelILi16ELi16ELb1EPKPKfPKPfEviiT2_lllS7_lllT3_llli,comdat
	.globl	_ZL19rocblas_dgmm_kernelILi16ELi16ELb1EPKPKfPKPfEviiT2_lllS7_lllT3_llli ; -- Begin function _ZL19rocblas_dgmm_kernelILi16ELi16ELb1EPKPKfPKPfEviiT2_lllS7_lllT3_llli
	.p2align	8
	.type	_ZL19rocblas_dgmm_kernelILi16ELi16ELb1EPKPKfPKPfEviiT2_lllS7_lllT3_llli,@function
_ZL19rocblas_dgmm_kernelILi16ELi16ELb1EPKPKfPKPfEviiT2_lllS7_lllT3_llli: ; @_ZL19rocblas_dgmm_kernelILi16ELi16ELb1EPKPKfPKPfEviiT2_lllS7_lllT3_llli
; %bb.0:
	s_load_dwordx2 s[6:7], s[0:1], 0x0
	v_and_b32_e32 v1, 0x3ff, v0
	v_bfe_u32 v0, v0, 10, 10
	v_lshl_add_u32 v2, s2, 4, v1
	v_lshl_add_u32 v4, s3, 4, v0
	s_waitcnt lgkmcnt(0)
	v_cmp_gt_i32_e32 vcc, s6, v2
	v_cmp_gt_i32_e64 s[2:3], s7, v4
	s_and_b64 s[2:3], vcc, s[2:3]
	s_and_saveexec_b64 s[8:9], s[2:3]
	s_cbranch_execz .LBB19_3
; %bb.1:
	s_load_dwordx4 s[8:11], s[0:1], 0x8
	s_load_dwordx2 s[2:3], s[0:1], 0x18
	s_mov_b32 s5, 0
	s_lshl_b64 s[20:21], s[4:5], 3
	v_ashrrev_i32_e32 v3, 31, v2
	s_waitcnt lgkmcnt(0)
	s_add_u32 s8, s8, s20
	s_addc_u32 s9, s9, s21
	s_load_dwordx2 s[16:17], s[8:9], 0x0
	s_load_dwordx4 s[12:15], s[0:1], 0x28
	s_load_dwordx2 s[4:5], s[0:1], 0x38
	s_lshl_b64 s[8:9], s[10:11], 2
	v_lshlrev_b64 v[2:3], 2, v[2:3]
	s_waitcnt lgkmcnt(0)
	s_add_u32 s22, s16, s8
	s_addc_u32 s23, s17, s9
	s_add_u32 s10, s12, s20
	s_addc_u32 s11, s13, s21
	s_load_dwordx2 s[12:13], s[10:11], 0x0
	s_load_dwordx2 s[8:9], s[0:1], 0x58
	s_load_dwordx4 s[16:19], s[0:1], 0x48
	s_lshl_b64 s[10:11], s[14:15], 2
	v_lshl_add_u64 v[0:1], s[22:23], 0, v[2:3]
	s_waitcnt lgkmcnt(0)
	s_add_u32 s10, s12, s10
	s_addc_u32 s11, s13, s11
	s_add_u32 s12, s16, s20
	s_addc_u32 s13, s17, s21
	s_load_dwordx2 s[14:15], s[12:13], 0x0
	s_load_dword s6, s[0:1], 0x74
	s_lshl_b64 s[0:1], s[18:19], 2
	s_waitcnt lgkmcnt(0)
	s_add_u32 s0, s14, s0
	s_addc_u32 s1, s15, s1
	s_lshl_b32 s6, s6, 4
	v_lshl_add_u64 v[2:3], s[0:1], 0, v[2:3]
	s_mov_b64 s[0:1], 0
.LBB19_2:                               ; =>This Inner Loop Header: Depth=1
	v_ashrrev_i32_e32 v5, 31, v4
	v_mul_lo_u32 v10, s3, v4
	v_mad_u64_u32 v[6:7], s[12:13], s2, v4, 0
	v_mul_lo_u32 v12, s2, v5
	v_mul_lo_u32 v11, s5, v4
	v_mad_u64_u32 v[8:9], s[12:13], s4, v4, 0
	v_mul_lo_u32 v13, s4, v5
	v_add3_u32 v7, v7, v12, v10
	v_add3_u32 v9, v9, v13, v11
	v_lshl_add_u64 v[6:7], v[6:7], 2, v[0:1]
	v_lshl_add_u64 v[8:9], v[8:9], 2, s[10:11]
	flat_load_dword v10, v[6:7]
	flat_load_dword v11, v[8:9]
	v_mul_lo_u32 v8, s9, v4
	v_mad_u64_u32 v[6:7], s[12:13], s8, v4, 0
	v_add_u32_e32 v4, s6, v4
	v_mul_lo_u32 v5, s8, v5
	v_cmp_le_i32_e32 vcc, s7, v4
	v_add3_u32 v7, v7, v5, v8
	s_or_b64 s[0:1], vcc, s[0:1]
	v_lshl_add_u64 v[6:7], v[6:7], 2, v[2:3]
	s_waitcnt vmcnt(0) lgkmcnt(0)
	v_mul_f32_e32 v5, v10, v11
	flat_store_dword v[6:7], v5
	s_andn2_b64 exec, exec, s[0:1]
	s_cbranch_execnz .LBB19_2
.LBB19_3:
	s_endpgm
	.section	.rodata,"a",@progbits
	.p2align	6, 0x0
	.amdhsa_kernel _ZL19rocblas_dgmm_kernelILi16ELi16ELb1EPKPKfPKPfEviiT2_lllS7_lllT3_llli
		.amdhsa_group_segment_fixed_size 0
		.amdhsa_private_segment_fixed_size 0
		.amdhsa_kernarg_size 368
		.amdhsa_user_sgpr_count 2
		.amdhsa_user_sgpr_dispatch_ptr 0
		.amdhsa_user_sgpr_queue_ptr 0
		.amdhsa_user_sgpr_kernarg_segment_ptr 1
		.amdhsa_user_sgpr_dispatch_id 0
		.amdhsa_user_sgpr_kernarg_preload_length 0
		.amdhsa_user_sgpr_kernarg_preload_offset 0
		.amdhsa_user_sgpr_private_segment_size 0
		.amdhsa_uses_dynamic_stack 0
		.amdhsa_enable_private_segment 0
		.amdhsa_system_sgpr_workgroup_id_x 1
		.amdhsa_system_sgpr_workgroup_id_y 1
		.amdhsa_system_sgpr_workgroup_id_z 1
		.amdhsa_system_sgpr_workgroup_info 0
		.amdhsa_system_vgpr_workitem_id 1
		.amdhsa_next_free_vgpr 14
		.amdhsa_next_free_sgpr 24
		.amdhsa_accum_offset 16
		.amdhsa_reserve_vcc 1
		.amdhsa_float_round_mode_32 0
		.amdhsa_float_round_mode_16_64 0
		.amdhsa_float_denorm_mode_32 3
		.amdhsa_float_denorm_mode_16_64 3
		.amdhsa_dx10_clamp 1
		.amdhsa_ieee_mode 1
		.amdhsa_fp16_overflow 0
		.amdhsa_tg_split 0
		.amdhsa_exception_fp_ieee_invalid_op 0
		.amdhsa_exception_fp_denorm_src 0
		.amdhsa_exception_fp_ieee_div_zero 0
		.amdhsa_exception_fp_ieee_overflow 0
		.amdhsa_exception_fp_ieee_underflow 0
		.amdhsa_exception_fp_ieee_inexact 0
		.amdhsa_exception_int_div_zero 0
	.end_amdhsa_kernel
	.section	.text._ZL19rocblas_dgmm_kernelILi16ELi16ELb1EPKPKfPKPfEviiT2_lllS7_lllT3_llli,"axG",@progbits,_ZL19rocblas_dgmm_kernelILi16ELi16ELb1EPKPKfPKPfEviiT2_lllS7_lllT3_llli,comdat
.Lfunc_end19:
	.size	_ZL19rocblas_dgmm_kernelILi16ELi16ELb1EPKPKfPKPfEviiT2_lllS7_lllT3_llli, .Lfunc_end19-_ZL19rocblas_dgmm_kernelILi16ELi16ELb1EPKPKfPKPfEviiT2_lllS7_lllT3_llli
                                        ; -- End function
	.set _ZL19rocblas_dgmm_kernelILi16ELi16ELb1EPKPKfPKPfEviiT2_lllS7_lllT3_llli.num_vgpr, 14
	.set _ZL19rocblas_dgmm_kernelILi16ELi16ELb1EPKPKfPKPfEviiT2_lllS7_lllT3_llli.num_agpr, 0
	.set _ZL19rocblas_dgmm_kernelILi16ELi16ELb1EPKPKfPKPfEviiT2_lllS7_lllT3_llli.numbered_sgpr, 24
	.set _ZL19rocblas_dgmm_kernelILi16ELi16ELb1EPKPKfPKPfEviiT2_lllS7_lllT3_llli.num_named_barrier, 0
	.set _ZL19rocblas_dgmm_kernelILi16ELi16ELb1EPKPKfPKPfEviiT2_lllS7_lllT3_llli.private_seg_size, 0
	.set _ZL19rocblas_dgmm_kernelILi16ELi16ELb1EPKPKfPKPfEviiT2_lllS7_lllT3_llli.uses_vcc, 1
	.set _ZL19rocblas_dgmm_kernelILi16ELi16ELb1EPKPKfPKPfEviiT2_lllS7_lllT3_llli.uses_flat_scratch, 0
	.set _ZL19rocblas_dgmm_kernelILi16ELi16ELb1EPKPKfPKPfEviiT2_lllS7_lllT3_llli.has_dyn_sized_stack, 0
	.set _ZL19rocblas_dgmm_kernelILi16ELi16ELb1EPKPKfPKPfEviiT2_lllS7_lllT3_llli.has_recursion, 0
	.set _ZL19rocblas_dgmm_kernelILi16ELi16ELb1EPKPKfPKPfEviiT2_lllS7_lllT3_llli.has_indirect_call, 0
	.section	.AMDGPU.csdata,"",@progbits
; Kernel info:
; codeLenInByte = 448
; TotalNumSgprs: 30
; NumVgprs: 14
; NumAgprs: 0
; TotalNumVgprs: 14
; ScratchSize: 0
; MemoryBound: 0
; FloatMode: 240
; IeeeMode: 1
; LDSByteSize: 0 bytes/workgroup (compile time only)
; SGPRBlocks: 3
; VGPRBlocks: 1
; NumSGPRsForWavesPerEU: 30
; NumVGPRsForWavesPerEU: 14
; AccumOffset: 16
; Occupancy: 8
; WaveLimiterHint : 1
; COMPUTE_PGM_RSRC2:SCRATCH_EN: 0
; COMPUTE_PGM_RSRC2:USER_SGPR: 2
; COMPUTE_PGM_RSRC2:TRAP_HANDLER: 0
; COMPUTE_PGM_RSRC2:TGID_X_EN: 1
; COMPUTE_PGM_RSRC2:TGID_Y_EN: 1
; COMPUTE_PGM_RSRC2:TGID_Z_EN: 1
; COMPUTE_PGM_RSRC2:TIDIG_COMP_CNT: 1
; COMPUTE_PGM_RSRC3_GFX90A:ACCUM_OFFSET: 3
; COMPUTE_PGM_RSRC3_GFX90A:TG_SPLIT: 0
	.section	.text._ZL26rocblas_dgmm_gfx942_kernelILi32ELi32ELb0EPKPKdPKPdEviiT2_lllS7_lllT3_lll,"axG",@progbits,_ZL26rocblas_dgmm_gfx942_kernelILi32ELi32ELb0EPKPKdPKPdEviiT2_lllS7_lllT3_lll,comdat
	.globl	_ZL26rocblas_dgmm_gfx942_kernelILi32ELi32ELb0EPKPKdPKPdEviiT2_lllS7_lllT3_lll ; -- Begin function _ZL26rocblas_dgmm_gfx942_kernelILi32ELi32ELb0EPKPKdPKPdEviiT2_lllS7_lllT3_lll
	.p2align	8
	.type	_ZL26rocblas_dgmm_gfx942_kernelILi32ELi32ELb0EPKPKdPKPdEviiT2_lllS7_lllT3_lll,@function
_ZL26rocblas_dgmm_gfx942_kernelILi32ELi32ELb0EPKPKdPKPdEviiT2_lllS7_lllT3_lll: ; @_ZL26rocblas_dgmm_gfx942_kernelILi32ELi32ELb0EPKPKdPKPdEviiT2_lllS7_lllT3_lll
; %bb.0:
	s_endpgm
	.section	.rodata,"a",@progbits
	.p2align	6, 0x0
	.amdhsa_kernel _ZL26rocblas_dgmm_gfx942_kernelILi32ELi32ELb0EPKPKdPKPdEviiT2_lllS7_lllT3_lll
		.amdhsa_group_segment_fixed_size 0
		.amdhsa_private_segment_fixed_size 0
		.amdhsa_kernarg_size 104
		.amdhsa_user_sgpr_count 2
		.amdhsa_user_sgpr_dispatch_ptr 0
		.amdhsa_user_sgpr_queue_ptr 0
		.amdhsa_user_sgpr_kernarg_segment_ptr 1
		.amdhsa_user_sgpr_dispatch_id 0
		.amdhsa_user_sgpr_kernarg_preload_length 0
		.amdhsa_user_sgpr_kernarg_preload_offset 0
		.amdhsa_user_sgpr_private_segment_size 0
		.amdhsa_uses_dynamic_stack 0
		.amdhsa_enable_private_segment 0
		.amdhsa_system_sgpr_workgroup_id_x 1
		.amdhsa_system_sgpr_workgroup_id_y 0
		.amdhsa_system_sgpr_workgroup_id_z 0
		.amdhsa_system_sgpr_workgroup_info 0
		.amdhsa_system_vgpr_workitem_id 0
		.amdhsa_next_free_vgpr 1
		.amdhsa_next_free_sgpr 0
		.amdhsa_accum_offset 4
		.amdhsa_reserve_vcc 0
		.amdhsa_float_round_mode_32 0
		.amdhsa_float_round_mode_16_64 0
		.amdhsa_float_denorm_mode_32 3
		.amdhsa_float_denorm_mode_16_64 3
		.amdhsa_dx10_clamp 1
		.amdhsa_ieee_mode 1
		.amdhsa_fp16_overflow 0
		.amdhsa_tg_split 0
		.amdhsa_exception_fp_ieee_invalid_op 0
		.amdhsa_exception_fp_denorm_src 0
		.amdhsa_exception_fp_ieee_div_zero 0
		.amdhsa_exception_fp_ieee_overflow 0
		.amdhsa_exception_fp_ieee_underflow 0
		.amdhsa_exception_fp_ieee_inexact 0
		.amdhsa_exception_int_div_zero 0
	.end_amdhsa_kernel
	.section	.text._ZL26rocblas_dgmm_gfx942_kernelILi32ELi32ELb0EPKPKdPKPdEviiT2_lllS7_lllT3_lll,"axG",@progbits,_ZL26rocblas_dgmm_gfx942_kernelILi32ELi32ELb0EPKPKdPKPdEviiT2_lllS7_lllT3_lll,comdat
.Lfunc_end20:
	.size	_ZL26rocblas_dgmm_gfx942_kernelILi32ELi32ELb0EPKPKdPKPdEviiT2_lllS7_lllT3_lll, .Lfunc_end20-_ZL26rocblas_dgmm_gfx942_kernelILi32ELi32ELb0EPKPKdPKPdEviiT2_lllS7_lllT3_lll
                                        ; -- End function
	.set _ZL26rocblas_dgmm_gfx942_kernelILi32ELi32ELb0EPKPKdPKPdEviiT2_lllS7_lllT3_lll.num_vgpr, 0
	.set _ZL26rocblas_dgmm_gfx942_kernelILi32ELi32ELb0EPKPKdPKPdEviiT2_lllS7_lllT3_lll.num_agpr, 0
	.set _ZL26rocblas_dgmm_gfx942_kernelILi32ELi32ELb0EPKPKdPKPdEviiT2_lllS7_lllT3_lll.numbered_sgpr, 0
	.set _ZL26rocblas_dgmm_gfx942_kernelILi32ELi32ELb0EPKPKdPKPdEviiT2_lllS7_lllT3_lll.num_named_barrier, 0
	.set _ZL26rocblas_dgmm_gfx942_kernelILi32ELi32ELb0EPKPKdPKPdEviiT2_lllS7_lllT3_lll.private_seg_size, 0
	.set _ZL26rocblas_dgmm_gfx942_kernelILi32ELi32ELb0EPKPKdPKPdEviiT2_lllS7_lllT3_lll.uses_vcc, 0
	.set _ZL26rocblas_dgmm_gfx942_kernelILi32ELi32ELb0EPKPKdPKPdEviiT2_lllS7_lllT3_lll.uses_flat_scratch, 0
	.set _ZL26rocblas_dgmm_gfx942_kernelILi32ELi32ELb0EPKPKdPKPdEviiT2_lllS7_lllT3_lll.has_dyn_sized_stack, 0
	.set _ZL26rocblas_dgmm_gfx942_kernelILi32ELi32ELb0EPKPKdPKPdEviiT2_lllS7_lllT3_lll.has_recursion, 0
	.set _ZL26rocblas_dgmm_gfx942_kernelILi32ELi32ELb0EPKPKdPKPdEviiT2_lllS7_lllT3_lll.has_indirect_call, 0
	.section	.AMDGPU.csdata,"",@progbits
; Kernel info:
; codeLenInByte = 4
; TotalNumSgprs: 6
; NumVgprs: 0
; NumAgprs: 0
; TotalNumVgprs: 0
; ScratchSize: 0
; MemoryBound: 0
; FloatMode: 240
; IeeeMode: 1
; LDSByteSize: 0 bytes/workgroup (compile time only)
; SGPRBlocks: 0
; VGPRBlocks: 0
; NumSGPRsForWavesPerEU: 6
; NumVGPRsForWavesPerEU: 1
; AccumOffset: 4
; Occupancy: 8
; WaveLimiterHint : 0
; COMPUTE_PGM_RSRC2:SCRATCH_EN: 0
; COMPUTE_PGM_RSRC2:USER_SGPR: 2
; COMPUTE_PGM_RSRC2:TRAP_HANDLER: 0
; COMPUTE_PGM_RSRC2:TGID_X_EN: 1
; COMPUTE_PGM_RSRC2:TGID_Y_EN: 0
; COMPUTE_PGM_RSRC2:TGID_Z_EN: 0
; COMPUTE_PGM_RSRC2:TIDIG_COMP_CNT: 0
; COMPUTE_PGM_RSRC3_GFX90A:ACCUM_OFFSET: 0
; COMPUTE_PGM_RSRC3_GFX90A:TG_SPLIT: 0
	.section	.text._ZL19rocblas_dgmm_kernelILi16ELi16ELb0EPKPKdPKPdEviiT2_lllS7_lllT3_llli,"axG",@progbits,_ZL19rocblas_dgmm_kernelILi16ELi16ELb0EPKPKdPKPdEviiT2_lllS7_lllT3_llli,comdat
	.globl	_ZL19rocblas_dgmm_kernelILi16ELi16ELb0EPKPKdPKPdEviiT2_lllS7_lllT3_llli ; -- Begin function _ZL19rocblas_dgmm_kernelILi16ELi16ELb0EPKPKdPKPdEviiT2_lllS7_lllT3_llli
	.p2align	8
	.type	_ZL19rocblas_dgmm_kernelILi16ELi16ELb0EPKPKdPKPdEviiT2_lllS7_lllT3_llli,@function
_ZL19rocblas_dgmm_kernelILi16ELi16ELb0EPKPKdPKPdEviiT2_lllS7_lllT3_llli: ; @_ZL19rocblas_dgmm_kernelILi16ELi16ELb0EPKPKdPKPdEviiT2_lllS7_lllT3_llli
; %bb.0:
	s_load_dwordx2 s[8:9], s[0:1], 0x0
	v_and_b32_e32 v1, 0x3ff, v0
	v_bfe_u32 v0, v0, 10, 10
	v_lshl_add_u32 v2, s2, 4, v1
	v_lshl_add_u32 v6, s3, 4, v0
	s_waitcnt lgkmcnt(0)
	v_cmp_gt_i32_e32 vcc, s8, v2
	v_cmp_gt_i32_e64 s[2:3], s9, v6
	s_and_b64 s[2:3], vcc, s[2:3]
	s_and_saveexec_b64 s[6:7], s[2:3]
	s_cbranch_execz .LBB21_3
; %bb.1:
	s_load_dwordx4 s[12:15], s[0:1], 0x8
	s_load_dwordx2 s[2:3], s[0:1], 0x18
	s_mov_b32 s5, 0
	s_lshl_b64 s[20:21], s[4:5], 3
	v_ashrrev_i32_e32 v3, 31, v2
	s_waitcnt lgkmcnt(0)
	s_add_u32 s12, s12, s20
	s_addc_u32 s13, s13, s21
	s_load_dwordx2 s[22:23], s[12:13], 0x0
	s_load_dwordx4 s[16:19], s[0:1], 0x28
	s_load_dwordx2 s[24:25], s[0:1], 0x38
	s_load_dwordx2 s[10:11], s[0:1], 0x58
	s_load_dwordx4 s[4:7], s[0:1], 0x48
	s_lshl_b64 s[12:13], s[14:15], 3
	s_waitcnt lgkmcnt(0)
	s_add_u32 s12, s22, s12
	s_addc_u32 s13, s23, s13
	s_add_u32 s14, s16, s20
	s_addc_u32 s15, s17, s21
	s_load_dwordx2 s[14:15], s[14:15], 0x0
	v_lshlrev_b64 v[4:5], 3, v[2:3]
	s_load_dword s8, s[0:1], 0x74
	s_lshl_b64 s[0:1], s[18:19], 3
	v_mul_lo_u32 v7, s25, v2
	s_waitcnt lgkmcnt(0)
	s_add_u32 s0, s14, s0
	s_addc_u32 s1, s15, s1
	s_add_u32 s4, s4, s20
	s_addc_u32 s5, s5, s21
	s_load_dwordx2 s[4:5], s[4:5], 0x0
	s_lshl_b64 s[6:7], s[6:7], 3
	v_mul_lo_u32 v8, s24, v3
	v_lshl_add_u64 v[0:1], s[12:13], 0, v[4:5]
	s_waitcnt lgkmcnt(0)
	s_add_u32 s4, s4, s6
	s_addc_u32 s5, s5, s7
	v_mad_u64_u32 v[2:3], s[6:7], s24, v2, 0
	v_add3_u32 v3, v3, v8, v7
	v_lshl_add_u64 v[2:3], v[2:3], 3, s[0:1]
	v_lshl_add_u64 v[4:5], s[4:5], 0, v[4:5]
	s_lshl_b32 s4, s8, 4
	s_mov_b64 s[0:1], 0
.LBB21_2:                               ; =>This Inner Loop Header: Depth=1
	v_ashrrev_i32_e32 v7, 31, v6
	v_mul_lo_u32 v12, s3, v6
	v_mad_u64_u32 v[8:9], s[6:7], s2, v6, 0
	v_mul_lo_u32 v13, s2, v7
	v_add3_u32 v9, v9, v13, v12
	v_lshl_add_u64 v[8:9], v[8:9], 3, v[0:1]
	flat_load_dwordx2 v[10:11], v[2:3]
	v_mul_lo_u32 v14, s11, v6
	flat_load_dwordx2 v[8:9], v[8:9]
	v_mad_u64_u32 v[12:13], s[6:7], s10, v6, 0
	v_add_u32_e32 v6, s4, v6
	v_mul_lo_u32 v7, s10, v7
	v_cmp_le_i32_e32 vcc, s9, v6
	v_add3_u32 v13, v13, v7, v14
	s_or_b64 s[0:1], vcc, s[0:1]
	v_lshl_add_u64 v[12:13], v[12:13], 3, v[4:5]
	s_waitcnt vmcnt(0) lgkmcnt(0)
	v_mul_f64 v[8:9], v[8:9], v[10:11]
	flat_store_dwordx2 v[12:13], v[8:9]
	s_andn2_b64 exec, exec, s[0:1]
	s_cbranch_execnz .LBB21_2
.LBB21_3:
	s_endpgm
	.section	.rodata,"a",@progbits
	.p2align	6, 0x0
	.amdhsa_kernel _ZL19rocblas_dgmm_kernelILi16ELi16ELb0EPKPKdPKPdEviiT2_lllS7_lllT3_llli
		.amdhsa_group_segment_fixed_size 0
		.amdhsa_private_segment_fixed_size 0
		.amdhsa_kernarg_size 368
		.amdhsa_user_sgpr_count 2
		.amdhsa_user_sgpr_dispatch_ptr 0
		.amdhsa_user_sgpr_queue_ptr 0
		.amdhsa_user_sgpr_kernarg_segment_ptr 1
		.amdhsa_user_sgpr_dispatch_id 0
		.amdhsa_user_sgpr_kernarg_preload_length 0
		.amdhsa_user_sgpr_kernarg_preload_offset 0
		.amdhsa_user_sgpr_private_segment_size 0
		.amdhsa_uses_dynamic_stack 0
		.amdhsa_enable_private_segment 0
		.amdhsa_system_sgpr_workgroup_id_x 1
		.amdhsa_system_sgpr_workgroup_id_y 1
		.amdhsa_system_sgpr_workgroup_id_z 1
		.amdhsa_system_sgpr_workgroup_info 0
		.amdhsa_system_vgpr_workitem_id 1
		.amdhsa_next_free_vgpr 15
		.amdhsa_next_free_sgpr 26
		.amdhsa_accum_offset 16
		.amdhsa_reserve_vcc 1
		.amdhsa_float_round_mode_32 0
		.amdhsa_float_round_mode_16_64 0
		.amdhsa_float_denorm_mode_32 3
		.amdhsa_float_denorm_mode_16_64 3
		.amdhsa_dx10_clamp 1
		.amdhsa_ieee_mode 1
		.amdhsa_fp16_overflow 0
		.amdhsa_tg_split 0
		.amdhsa_exception_fp_ieee_invalid_op 0
		.amdhsa_exception_fp_denorm_src 0
		.amdhsa_exception_fp_ieee_div_zero 0
		.amdhsa_exception_fp_ieee_overflow 0
		.amdhsa_exception_fp_ieee_underflow 0
		.amdhsa_exception_fp_ieee_inexact 0
		.amdhsa_exception_int_div_zero 0
	.end_amdhsa_kernel
	.section	.text._ZL19rocblas_dgmm_kernelILi16ELi16ELb0EPKPKdPKPdEviiT2_lllS7_lllT3_llli,"axG",@progbits,_ZL19rocblas_dgmm_kernelILi16ELi16ELb0EPKPKdPKPdEviiT2_lllS7_lllT3_llli,comdat
.Lfunc_end21:
	.size	_ZL19rocblas_dgmm_kernelILi16ELi16ELb0EPKPKdPKPdEviiT2_lllS7_lllT3_llli, .Lfunc_end21-_ZL19rocblas_dgmm_kernelILi16ELi16ELb0EPKPKdPKPdEviiT2_lllS7_lllT3_llli
                                        ; -- End function
	.set _ZL19rocblas_dgmm_kernelILi16ELi16ELb0EPKPKdPKPdEviiT2_lllS7_lllT3_llli.num_vgpr, 15
	.set _ZL19rocblas_dgmm_kernelILi16ELi16ELb0EPKPKdPKPdEviiT2_lllS7_lllT3_llli.num_agpr, 0
	.set _ZL19rocblas_dgmm_kernelILi16ELi16ELb0EPKPKdPKPdEviiT2_lllS7_lllT3_llli.numbered_sgpr, 26
	.set _ZL19rocblas_dgmm_kernelILi16ELi16ELb0EPKPKdPKPdEviiT2_lllS7_lllT3_llli.num_named_barrier, 0
	.set _ZL19rocblas_dgmm_kernelILi16ELi16ELb0EPKPKdPKPdEviiT2_lllS7_lllT3_llli.private_seg_size, 0
	.set _ZL19rocblas_dgmm_kernelILi16ELi16ELb0EPKPKdPKPdEviiT2_lllS7_lllT3_llli.uses_vcc, 1
	.set _ZL19rocblas_dgmm_kernelILi16ELi16ELb0EPKPKdPKPdEviiT2_lllS7_lllT3_llli.uses_flat_scratch, 0
	.set _ZL19rocblas_dgmm_kernelILi16ELi16ELb0EPKPKdPKPdEviiT2_lllS7_lllT3_llli.has_dyn_sized_stack, 0
	.set _ZL19rocblas_dgmm_kernelILi16ELi16ELb0EPKPKdPKPdEviiT2_lllS7_lllT3_llli.has_recursion, 0
	.set _ZL19rocblas_dgmm_kernelILi16ELi16ELb0EPKPKdPKPdEviiT2_lllS7_lllT3_llli.has_indirect_call, 0
	.section	.AMDGPU.csdata,"",@progbits
; Kernel info:
; codeLenInByte = 452
; TotalNumSgprs: 32
; NumVgprs: 15
; NumAgprs: 0
; TotalNumVgprs: 15
; ScratchSize: 0
; MemoryBound: 0
; FloatMode: 240
; IeeeMode: 1
; LDSByteSize: 0 bytes/workgroup (compile time only)
; SGPRBlocks: 3
; VGPRBlocks: 1
; NumSGPRsForWavesPerEU: 32
; NumVGPRsForWavesPerEU: 15
; AccumOffset: 16
; Occupancy: 8
; WaveLimiterHint : 1
; COMPUTE_PGM_RSRC2:SCRATCH_EN: 0
; COMPUTE_PGM_RSRC2:USER_SGPR: 2
; COMPUTE_PGM_RSRC2:TRAP_HANDLER: 0
; COMPUTE_PGM_RSRC2:TGID_X_EN: 1
; COMPUTE_PGM_RSRC2:TGID_Y_EN: 1
; COMPUTE_PGM_RSRC2:TGID_Z_EN: 1
; COMPUTE_PGM_RSRC2:TIDIG_COMP_CNT: 1
; COMPUTE_PGM_RSRC3_GFX90A:ACCUM_OFFSET: 3
; COMPUTE_PGM_RSRC3_GFX90A:TG_SPLIT: 0
	.section	.text._ZL26rocblas_dgmm_gfx942_kernelILi32ELi32ELb1EPKPKdPKPdEviiT2_lllS7_lllT3_lll,"axG",@progbits,_ZL26rocblas_dgmm_gfx942_kernelILi32ELi32ELb1EPKPKdPKPdEviiT2_lllS7_lllT3_lll,comdat
	.globl	_ZL26rocblas_dgmm_gfx942_kernelILi32ELi32ELb1EPKPKdPKPdEviiT2_lllS7_lllT3_lll ; -- Begin function _ZL26rocblas_dgmm_gfx942_kernelILi32ELi32ELb1EPKPKdPKPdEviiT2_lllS7_lllT3_lll
	.p2align	8
	.type	_ZL26rocblas_dgmm_gfx942_kernelILi32ELi32ELb1EPKPKdPKPdEviiT2_lllS7_lllT3_lll,@function
_ZL26rocblas_dgmm_gfx942_kernelILi32ELi32ELb1EPKPKdPKPdEviiT2_lllS7_lllT3_lll: ; @_ZL26rocblas_dgmm_gfx942_kernelILi32ELi32ELb1EPKPKdPKPdEviiT2_lllS7_lllT3_lll
; %bb.0:
	s_endpgm
	.section	.rodata,"a",@progbits
	.p2align	6, 0x0
	.amdhsa_kernel _ZL26rocblas_dgmm_gfx942_kernelILi32ELi32ELb1EPKPKdPKPdEviiT2_lllS7_lllT3_lll
		.amdhsa_group_segment_fixed_size 0
		.amdhsa_private_segment_fixed_size 0
		.amdhsa_kernarg_size 104
		.amdhsa_user_sgpr_count 2
		.amdhsa_user_sgpr_dispatch_ptr 0
		.amdhsa_user_sgpr_queue_ptr 0
		.amdhsa_user_sgpr_kernarg_segment_ptr 1
		.amdhsa_user_sgpr_dispatch_id 0
		.amdhsa_user_sgpr_kernarg_preload_length 0
		.amdhsa_user_sgpr_kernarg_preload_offset 0
		.amdhsa_user_sgpr_private_segment_size 0
		.amdhsa_uses_dynamic_stack 0
		.amdhsa_enable_private_segment 0
		.amdhsa_system_sgpr_workgroup_id_x 1
		.amdhsa_system_sgpr_workgroup_id_y 0
		.amdhsa_system_sgpr_workgroup_id_z 0
		.amdhsa_system_sgpr_workgroup_info 0
		.amdhsa_system_vgpr_workitem_id 0
		.amdhsa_next_free_vgpr 1
		.amdhsa_next_free_sgpr 0
		.amdhsa_accum_offset 4
		.amdhsa_reserve_vcc 0
		.amdhsa_float_round_mode_32 0
		.amdhsa_float_round_mode_16_64 0
		.amdhsa_float_denorm_mode_32 3
		.amdhsa_float_denorm_mode_16_64 3
		.amdhsa_dx10_clamp 1
		.amdhsa_ieee_mode 1
		.amdhsa_fp16_overflow 0
		.amdhsa_tg_split 0
		.amdhsa_exception_fp_ieee_invalid_op 0
		.amdhsa_exception_fp_denorm_src 0
		.amdhsa_exception_fp_ieee_div_zero 0
		.amdhsa_exception_fp_ieee_overflow 0
		.amdhsa_exception_fp_ieee_underflow 0
		.amdhsa_exception_fp_ieee_inexact 0
		.amdhsa_exception_int_div_zero 0
	.end_amdhsa_kernel
	.section	.text._ZL26rocblas_dgmm_gfx942_kernelILi32ELi32ELb1EPKPKdPKPdEviiT2_lllS7_lllT3_lll,"axG",@progbits,_ZL26rocblas_dgmm_gfx942_kernelILi32ELi32ELb1EPKPKdPKPdEviiT2_lllS7_lllT3_lll,comdat
.Lfunc_end22:
	.size	_ZL26rocblas_dgmm_gfx942_kernelILi32ELi32ELb1EPKPKdPKPdEviiT2_lllS7_lllT3_lll, .Lfunc_end22-_ZL26rocblas_dgmm_gfx942_kernelILi32ELi32ELb1EPKPKdPKPdEviiT2_lllS7_lllT3_lll
                                        ; -- End function
	.set _ZL26rocblas_dgmm_gfx942_kernelILi32ELi32ELb1EPKPKdPKPdEviiT2_lllS7_lllT3_lll.num_vgpr, 0
	.set _ZL26rocblas_dgmm_gfx942_kernelILi32ELi32ELb1EPKPKdPKPdEviiT2_lllS7_lllT3_lll.num_agpr, 0
	.set _ZL26rocblas_dgmm_gfx942_kernelILi32ELi32ELb1EPKPKdPKPdEviiT2_lllS7_lllT3_lll.numbered_sgpr, 0
	.set _ZL26rocblas_dgmm_gfx942_kernelILi32ELi32ELb1EPKPKdPKPdEviiT2_lllS7_lllT3_lll.num_named_barrier, 0
	.set _ZL26rocblas_dgmm_gfx942_kernelILi32ELi32ELb1EPKPKdPKPdEviiT2_lllS7_lllT3_lll.private_seg_size, 0
	.set _ZL26rocblas_dgmm_gfx942_kernelILi32ELi32ELb1EPKPKdPKPdEviiT2_lllS7_lllT3_lll.uses_vcc, 0
	.set _ZL26rocblas_dgmm_gfx942_kernelILi32ELi32ELb1EPKPKdPKPdEviiT2_lllS7_lllT3_lll.uses_flat_scratch, 0
	.set _ZL26rocblas_dgmm_gfx942_kernelILi32ELi32ELb1EPKPKdPKPdEviiT2_lllS7_lllT3_lll.has_dyn_sized_stack, 0
	.set _ZL26rocblas_dgmm_gfx942_kernelILi32ELi32ELb1EPKPKdPKPdEviiT2_lllS7_lllT3_lll.has_recursion, 0
	.set _ZL26rocblas_dgmm_gfx942_kernelILi32ELi32ELb1EPKPKdPKPdEviiT2_lllS7_lllT3_lll.has_indirect_call, 0
	.section	.AMDGPU.csdata,"",@progbits
; Kernel info:
; codeLenInByte = 4
; TotalNumSgprs: 6
; NumVgprs: 0
; NumAgprs: 0
; TotalNumVgprs: 0
; ScratchSize: 0
; MemoryBound: 0
; FloatMode: 240
; IeeeMode: 1
; LDSByteSize: 0 bytes/workgroup (compile time only)
; SGPRBlocks: 0
; VGPRBlocks: 0
; NumSGPRsForWavesPerEU: 6
; NumVGPRsForWavesPerEU: 1
; AccumOffset: 4
; Occupancy: 8
; WaveLimiterHint : 0
; COMPUTE_PGM_RSRC2:SCRATCH_EN: 0
; COMPUTE_PGM_RSRC2:USER_SGPR: 2
; COMPUTE_PGM_RSRC2:TRAP_HANDLER: 0
; COMPUTE_PGM_RSRC2:TGID_X_EN: 1
; COMPUTE_PGM_RSRC2:TGID_Y_EN: 0
; COMPUTE_PGM_RSRC2:TGID_Z_EN: 0
; COMPUTE_PGM_RSRC2:TIDIG_COMP_CNT: 0
; COMPUTE_PGM_RSRC3_GFX90A:ACCUM_OFFSET: 0
; COMPUTE_PGM_RSRC3_GFX90A:TG_SPLIT: 0
	.section	.text._ZL19rocblas_dgmm_kernelILi16ELi16ELb1EPKPKdPKPdEviiT2_lllS7_lllT3_llli,"axG",@progbits,_ZL19rocblas_dgmm_kernelILi16ELi16ELb1EPKPKdPKPdEviiT2_lllS7_lllT3_llli,comdat
	.globl	_ZL19rocblas_dgmm_kernelILi16ELi16ELb1EPKPKdPKPdEviiT2_lllS7_lllT3_llli ; -- Begin function _ZL19rocblas_dgmm_kernelILi16ELi16ELb1EPKPKdPKPdEviiT2_lllS7_lllT3_llli
	.p2align	8
	.type	_ZL19rocblas_dgmm_kernelILi16ELi16ELb1EPKPKdPKPdEviiT2_lllS7_lllT3_llli,@function
_ZL19rocblas_dgmm_kernelILi16ELi16ELb1EPKPKdPKPdEviiT2_lllS7_lllT3_llli: ; @_ZL19rocblas_dgmm_kernelILi16ELi16ELb1EPKPKdPKPdEviiT2_lllS7_lllT3_llli
; %bb.0:
	s_load_dwordx2 s[6:7], s[0:1], 0x0
	v_and_b32_e32 v1, 0x3ff, v0
	v_bfe_u32 v0, v0, 10, 10
	v_lshl_add_u32 v2, s2, 4, v1
	v_lshl_add_u32 v4, s3, 4, v0
	s_waitcnt lgkmcnt(0)
	v_cmp_gt_i32_e32 vcc, s6, v2
	v_cmp_gt_i32_e64 s[2:3], s7, v4
	s_and_b64 s[2:3], vcc, s[2:3]
	s_and_saveexec_b64 s[8:9], s[2:3]
	s_cbranch_execz .LBB23_3
; %bb.1:
	s_load_dwordx4 s[8:11], s[0:1], 0x8
	s_load_dwordx2 s[2:3], s[0:1], 0x18
	s_mov_b32 s5, 0
	s_lshl_b64 s[20:21], s[4:5], 3
	v_ashrrev_i32_e32 v3, 31, v2
	s_waitcnt lgkmcnt(0)
	s_add_u32 s8, s8, s20
	s_addc_u32 s9, s9, s21
	s_load_dwordx2 s[16:17], s[8:9], 0x0
	s_load_dwordx4 s[12:15], s[0:1], 0x28
	s_load_dwordx2 s[4:5], s[0:1], 0x38
	s_lshl_b64 s[8:9], s[10:11], 3
	v_lshlrev_b64 v[2:3], 3, v[2:3]
	s_waitcnt lgkmcnt(0)
	s_add_u32 s22, s16, s8
	s_addc_u32 s23, s17, s9
	s_add_u32 s10, s12, s20
	s_addc_u32 s11, s13, s21
	s_load_dwordx2 s[12:13], s[10:11], 0x0
	s_load_dwordx2 s[8:9], s[0:1], 0x58
	s_load_dwordx4 s[16:19], s[0:1], 0x48
	s_lshl_b64 s[10:11], s[14:15], 3
	v_lshl_add_u64 v[0:1], s[22:23], 0, v[2:3]
	s_waitcnt lgkmcnt(0)
	s_add_u32 s10, s12, s10
	s_addc_u32 s11, s13, s11
	s_add_u32 s12, s16, s20
	s_addc_u32 s13, s17, s21
	s_load_dwordx2 s[14:15], s[12:13], 0x0
	s_load_dword s6, s[0:1], 0x74
	s_lshl_b64 s[0:1], s[18:19], 3
	s_waitcnt lgkmcnt(0)
	s_add_u32 s0, s14, s0
	s_addc_u32 s1, s15, s1
	s_lshl_b32 s6, s6, 4
	v_lshl_add_u64 v[2:3], s[0:1], 0, v[2:3]
	s_mov_b64 s[0:1], 0
.LBB23_2:                               ; =>This Inner Loop Header: Depth=1
	v_ashrrev_i32_e32 v5, 31, v4
	v_mul_lo_u32 v10, s3, v4
	v_mad_u64_u32 v[6:7], s[12:13], s2, v4, 0
	v_mul_lo_u32 v12, s2, v5
	v_mul_lo_u32 v11, s5, v4
	v_mad_u64_u32 v[8:9], s[12:13], s4, v4, 0
	v_mul_lo_u32 v13, s4, v5
	v_add3_u32 v7, v7, v12, v10
	v_add3_u32 v9, v9, v13, v11
	v_lshl_add_u64 v[6:7], v[6:7], 3, v[0:1]
	v_lshl_add_u64 v[8:9], v[8:9], 3, s[10:11]
	flat_load_dwordx2 v[10:11], v[6:7]
	flat_load_dwordx2 v[12:13], v[8:9]
	v_mul_lo_u32 v8, s9, v4
	v_mad_u64_u32 v[6:7], s[12:13], s8, v4, 0
	v_add_u32_e32 v4, s6, v4
	v_mul_lo_u32 v5, s8, v5
	v_cmp_le_i32_e32 vcc, s7, v4
	v_add3_u32 v7, v7, v5, v8
	s_or_b64 s[0:1], vcc, s[0:1]
	v_lshl_add_u64 v[6:7], v[6:7], 3, v[2:3]
	s_waitcnt vmcnt(0) lgkmcnt(0)
	v_mul_f64 v[8:9], v[10:11], v[12:13]
	flat_store_dwordx2 v[6:7], v[8:9]
	s_andn2_b64 exec, exec, s[0:1]
	s_cbranch_execnz .LBB23_2
.LBB23_3:
	s_endpgm
	.section	.rodata,"a",@progbits
	.p2align	6, 0x0
	.amdhsa_kernel _ZL19rocblas_dgmm_kernelILi16ELi16ELb1EPKPKdPKPdEviiT2_lllS7_lllT3_llli
		.amdhsa_group_segment_fixed_size 0
		.amdhsa_private_segment_fixed_size 0
		.amdhsa_kernarg_size 368
		.amdhsa_user_sgpr_count 2
		.amdhsa_user_sgpr_dispatch_ptr 0
		.amdhsa_user_sgpr_queue_ptr 0
		.amdhsa_user_sgpr_kernarg_segment_ptr 1
		.amdhsa_user_sgpr_dispatch_id 0
		.amdhsa_user_sgpr_kernarg_preload_length 0
		.amdhsa_user_sgpr_kernarg_preload_offset 0
		.amdhsa_user_sgpr_private_segment_size 0
		.amdhsa_uses_dynamic_stack 0
		.amdhsa_enable_private_segment 0
		.amdhsa_system_sgpr_workgroup_id_x 1
		.amdhsa_system_sgpr_workgroup_id_y 1
		.amdhsa_system_sgpr_workgroup_id_z 1
		.amdhsa_system_sgpr_workgroup_info 0
		.amdhsa_system_vgpr_workitem_id 1
		.amdhsa_next_free_vgpr 14
		.amdhsa_next_free_sgpr 24
		.amdhsa_accum_offset 16
		.amdhsa_reserve_vcc 1
		.amdhsa_float_round_mode_32 0
		.amdhsa_float_round_mode_16_64 0
		.amdhsa_float_denorm_mode_32 3
		.amdhsa_float_denorm_mode_16_64 3
		.amdhsa_dx10_clamp 1
		.amdhsa_ieee_mode 1
		.amdhsa_fp16_overflow 0
		.amdhsa_tg_split 0
		.amdhsa_exception_fp_ieee_invalid_op 0
		.amdhsa_exception_fp_denorm_src 0
		.amdhsa_exception_fp_ieee_div_zero 0
		.amdhsa_exception_fp_ieee_overflow 0
		.amdhsa_exception_fp_ieee_underflow 0
		.amdhsa_exception_fp_ieee_inexact 0
		.amdhsa_exception_int_div_zero 0
	.end_amdhsa_kernel
	.section	.text._ZL19rocblas_dgmm_kernelILi16ELi16ELb1EPKPKdPKPdEviiT2_lllS7_lllT3_llli,"axG",@progbits,_ZL19rocblas_dgmm_kernelILi16ELi16ELb1EPKPKdPKPdEviiT2_lllS7_lllT3_llli,comdat
.Lfunc_end23:
	.size	_ZL19rocblas_dgmm_kernelILi16ELi16ELb1EPKPKdPKPdEviiT2_lllS7_lllT3_llli, .Lfunc_end23-_ZL19rocblas_dgmm_kernelILi16ELi16ELb1EPKPKdPKPdEviiT2_lllS7_lllT3_llli
                                        ; -- End function
	.set _ZL19rocblas_dgmm_kernelILi16ELi16ELb1EPKPKdPKPdEviiT2_lllS7_lllT3_llli.num_vgpr, 14
	.set _ZL19rocblas_dgmm_kernelILi16ELi16ELb1EPKPKdPKPdEviiT2_lllS7_lllT3_llli.num_agpr, 0
	.set _ZL19rocblas_dgmm_kernelILi16ELi16ELb1EPKPKdPKPdEviiT2_lllS7_lllT3_llli.numbered_sgpr, 24
	.set _ZL19rocblas_dgmm_kernelILi16ELi16ELb1EPKPKdPKPdEviiT2_lllS7_lllT3_llli.num_named_barrier, 0
	.set _ZL19rocblas_dgmm_kernelILi16ELi16ELb1EPKPKdPKPdEviiT2_lllS7_lllT3_llli.private_seg_size, 0
	.set _ZL19rocblas_dgmm_kernelILi16ELi16ELb1EPKPKdPKPdEviiT2_lllS7_lllT3_llli.uses_vcc, 1
	.set _ZL19rocblas_dgmm_kernelILi16ELi16ELb1EPKPKdPKPdEviiT2_lllS7_lllT3_llli.uses_flat_scratch, 0
	.set _ZL19rocblas_dgmm_kernelILi16ELi16ELb1EPKPKdPKPdEviiT2_lllS7_lllT3_llli.has_dyn_sized_stack, 0
	.set _ZL19rocblas_dgmm_kernelILi16ELi16ELb1EPKPKdPKPdEviiT2_lllS7_lllT3_llli.has_recursion, 0
	.set _ZL19rocblas_dgmm_kernelILi16ELi16ELb1EPKPKdPKPdEviiT2_lllS7_lllT3_llli.has_indirect_call, 0
	.section	.AMDGPU.csdata,"",@progbits
; Kernel info:
; codeLenInByte = 452
; TotalNumSgprs: 30
; NumVgprs: 14
; NumAgprs: 0
; TotalNumVgprs: 14
; ScratchSize: 0
; MemoryBound: 0
; FloatMode: 240
; IeeeMode: 1
; LDSByteSize: 0 bytes/workgroup (compile time only)
; SGPRBlocks: 3
; VGPRBlocks: 1
; NumSGPRsForWavesPerEU: 30
; NumVGPRsForWavesPerEU: 14
; AccumOffset: 16
; Occupancy: 8
; WaveLimiterHint : 1
; COMPUTE_PGM_RSRC2:SCRATCH_EN: 0
; COMPUTE_PGM_RSRC2:USER_SGPR: 2
; COMPUTE_PGM_RSRC2:TRAP_HANDLER: 0
; COMPUTE_PGM_RSRC2:TGID_X_EN: 1
; COMPUTE_PGM_RSRC2:TGID_Y_EN: 1
; COMPUTE_PGM_RSRC2:TGID_Z_EN: 1
; COMPUTE_PGM_RSRC2:TIDIG_COMP_CNT: 1
; COMPUTE_PGM_RSRC3_GFX90A:ACCUM_OFFSET: 3
; COMPUTE_PGM_RSRC3_GFX90A:TG_SPLIT: 0
	.section	.text._ZL26rocblas_dgmm_gfx942_kernelILi32ELi32ELb0EPKPK19rocblas_complex_numIfEPKPS1_EviiT2_lllS9_lllT3_lll,"axG",@progbits,_ZL26rocblas_dgmm_gfx942_kernelILi32ELi32ELb0EPKPK19rocblas_complex_numIfEPKPS1_EviiT2_lllS9_lllT3_lll,comdat
	.globl	_ZL26rocblas_dgmm_gfx942_kernelILi32ELi32ELb0EPKPK19rocblas_complex_numIfEPKPS1_EviiT2_lllS9_lllT3_lll ; -- Begin function _ZL26rocblas_dgmm_gfx942_kernelILi32ELi32ELb0EPKPK19rocblas_complex_numIfEPKPS1_EviiT2_lllS9_lllT3_lll
	.p2align	8
	.type	_ZL26rocblas_dgmm_gfx942_kernelILi32ELi32ELb0EPKPK19rocblas_complex_numIfEPKPS1_EviiT2_lllS9_lllT3_lll,@function
_ZL26rocblas_dgmm_gfx942_kernelILi32ELi32ELb0EPKPK19rocblas_complex_numIfEPKPS1_EviiT2_lllS9_lllT3_lll: ; @_ZL26rocblas_dgmm_gfx942_kernelILi32ELi32ELb0EPKPK19rocblas_complex_numIfEPKPS1_EviiT2_lllS9_lllT3_lll
; %bb.0:
	s_endpgm
	.section	.rodata,"a",@progbits
	.p2align	6, 0x0
	.amdhsa_kernel _ZL26rocblas_dgmm_gfx942_kernelILi32ELi32ELb0EPKPK19rocblas_complex_numIfEPKPS1_EviiT2_lllS9_lllT3_lll
		.amdhsa_group_segment_fixed_size 0
		.amdhsa_private_segment_fixed_size 0
		.amdhsa_kernarg_size 104
		.amdhsa_user_sgpr_count 2
		.amdhsa_user_sgpr_dispatch_ptr 0
		.amdhsa_user_sgpr_queue_ptr 0
		.amdhsa_user_sgpr_kernarg_segment_ptr 1
		.amdhsa_user_sgpr_dispatch_id 0
		.amdhsa_user_sgpr_kernarg_preload_length 0
		.amdhsa_user_sgpr_kernarg_preload_offset 0
		.amdhsa_user_sgpr_private_segment_size 0
		.amdhsa_uses_dynamic_stack 0
		.amdhsa_enable_private_segment 0
		.amdhsa_system_sgpr_workgroup_id_x 1
		.amdhsa_system_sgpr_workgroup_id_y 0
		.amdhsa_system_sgpr_workgroup_id_z 0
		.amdhsa_system_sgpr_workgroup_info 0
		.amdhsa_system_vgpr_workitem_id 0
		.amdhsa_next_free_vgpr 1
		.amdhsa_next_free_sgpr 0
		.amdhsa_accum_offset 4
		.amdhsa_reserve_vcc 0
		.amdhsa_float_round_mode_32 0
		.amdhsa_float_round_mode_16_64 0
		.amdhsa_float_denorm_mode_32 3
		.amdhsa_float_denorm_mode_16_64 3
		.amdhsa_dx10_clamp 1
		.amdhsa_ieee_mode 1
		.amdhsa_fp16_overflow 0
		.amdhsa_tg_split 0
		.amdhsa_exception_fp_ieee_invalid_op 0
		.amdhsa_exception_fp_denorm_src 0
		.amdhsa_exception_fp_ieee_div_zero 0
		.amdhsa_exception_fp_ieee_overflow 0
		.amdhsa_exception_fp_ieee_underflow 0
		.amdhsa_exception_fp_ieee_inexact 0
		.amdhsa_exception_int_div_zero 0
	.end_amdhsa_kernel
	.section	.text._ZL26rocblas_dgmm_gfx942_kernelILi32ELi32ELb0EPKPK19rocblas_complex_numIfEPKPS1_EviiT2_lllS9_lllT3_lll,"axG",@progbits,_ZL26rocblas_dgmm_gfx942_kernelILi32ELi32ELb0EPKPK19rocblas_complex_numIfEPKPS1_EviiT2_lllS9_lllT3_lll,comdat
.Lfunc_end24:
	.size	_ZL26rocblas_dgmm_gfx942_kernelILi32ELi32ELb0EPKPK19rocblas_complex_numIfEPKPS1_EviiT2_lllS9_lllT3_lll, .Lfunc_end24-_ZL26rocblas_dgmm_gfx942_kernelILi32ELi32ELb0EPKPK19rocblas_complex_numIfEPKPS1_EviiT2_lllS9_lllT3_lll
                                        ; -- End function
	.set _ZL26rocblas_dgmm_gfx942_kernelILi32ELi32ELb0EPKPK19rocblas_complex_numIfEPKPS1_EviiT2_lllS9_lllT3_lll.num_vgpr, 0
	.set _ZL26rocblas_dgmm_gfx942_kernelILi32ELi32ELb0EPKPK19rocblas_complex_numIfEPKPS1_EviiT2_lllS9_lllT3_lll.num_agpr, 0
	.set _ZL26rocblas_dgmm_gfx942_kernelILi32ELi32ELb0EPKPK19rocblas_complex_numIfEPKPS1_EviiT2_lllS9_lllT3_lll.numbered_sgpr, 0
	.set _ZL26rocblas_dgmm_gfx942_kernelILi32ELi32ELb0EPKPK19rocblas_complex_numIfEPKPS1_EviiT2_lllS9_lllT3_lll.num_named_barrier, 0
	.set _ZL26rocblas_dgmm_gfx942_kernelILi32ELi32ELb0EPKPK19rocblas_complex_numIfEPKPS1_EviiT2_lllS9_lllT3_lll.private_seg_size, 0
	.set _ZL26rocblas_dgmm_gfx942_kernelILi32ELi32ELb0EPKPK19rocblas_complex_numIfEPKPS1_EviiT2_lllS9_lllT3_lll.uses_vcc, 0
	.set _ZL26rocblas_dgmm_gfx942_kernelILi32ELi32ELb0EPKPK19rocblas_complex_numIfEPKPS1_EviiT2_lllS9_lllT3_lll.uses_flat_scratch, 0
	.set _ZL26rocblas_dgmm_gfx942_kernelILi32ELi32ELb0EPKPK19rocblas_complex_numIfEPKPS1_EviiT2_lllS9_lllT3_lll.has_dyn_sized_stack, 0
	.set _ZL26rocblas_dgmm_gfx942_kernelILi32ELi32ELb0EPKPK19rocblas_complex_numIfEPKPS1_EviiT2_lllS9_lllT3_lll.has_recursion, 0
	.set _ZL26rocblas_dgmm_gfx942_kernelILi32ELi32ELb0EPKPK19rocblas_complex_numIfEPKPS1_EviiT2_lllS9_lllT3_lll.has_indirect_call, 0
	.section	.AMDGPU.csdata,"",@progbits
; Kernel info:
; codeLenInByte = 4
; TotalNumSgprs: 6
; NumVgprs: 0
; NumAgprs: 0
; TotalNumVgprs: 0
; ScratchSize: 0
; MemoryBound: 0
; FloatMode: 240
; IeeeMode: 1
; LDSByteSize: 0 bytes/workgroup (compile time only)
; SGPRBlocks: 0
; VGPRBlocks: 0
; NumSGPRsForWavesPerEU: 6
; NumVGPRsForWavesPerEU: 1
; AccumOffset: 4
; Occupancy: 8
; WaveLimiterHint : 0
; COMPUTE_PGM_RSRC2:SCRATCH_EN: 0
; COMPUTE_PGM_RSRC2:USER_SGPR: 2
; COMPUTE_PGM_RSRC2:TRAP_HANDLER: 0
; COMPUTE_PGM_RSRC2:TGID_X_EN: 1
; COMPUTE_PGM_RSRC2:TGID_Y_EN: 0
; COMPUTE_PGM_RSRC2:TGID_Z_EN: 0
; COMPUTE_PGM_RSRC2:TIDIG_COMP_CNT: 0
; COMPUTE_PGM_RSRC3_GFX90A:ACCUM_OFFSET: 0
; COMPUTE_PGM_RSRC3_GFX90A:TG_SPLIT: 0
	.section	.text._ZL19rocblas_dgmm_kernelILi16ELi16ELb0EPKPK19rocblas_complex_numIfEPKPS1_EviiT2_lllS9_lllT3_llli,"axG",@progbits,_ZL19rocblas_dgmm_kernelILi16ELi16ELb0EPKPK19rocblas_complex_numIfEPKPS1_EviiT2_lllS9_lllT3_llli,comdat
	.globl	_ZL19rocblas_dgmm_kernelILi16ELi16ELb0EPKPK19rocblas_complex_numIfEPKPS1_EviiT2_lllS9_lllT3_llli ; -- Begin function _ZL19rocblas_dgmm_kernelILi16ELi16ELb0EPKPK19rocblas_complex_numIfEPKPS1_EviiT2_lllS9_lllT3_llli
	.p2align	8
	.type	_ZL19rocblas_dgmm_kernelILi16ELi16ELb0EPKPK19rocblas_complex_numIfEPKPS1_EviiT2_lllS9_lllT3_llli,@function
_ZL19rocblas_dgmm_kernelILi16ELi16ELb0EPKPK19rocblas_complex_numIfEPKPS1_EviiT2_lllS9_lllT3_llli: ; @_ZL19rocblas_dgmm_kernelILi16ELi16ELb0EPKPK19rocblas_complex_numIfEPKPS1_EviiT2_lllS9_lllT3_llli
; %bb.0:
	s_load_dwordx2 s[8:9], s[0:1], 0x0
	v_and_b32_e32 v1, 0x3ff, v0
	v_bfe_u32 v0, v0, 10, 10
	v_lshl_add_u32 v2, s2, 4, v1
	v_lshl_add_u32 v6, s3, 4, v0
	s_waitcnt lgkmcnt(0)
	v_cmp_gt_i32_e32 vcc, s8, v2
	v_cmp_gt_i32_e64 s[2:3], s9, v6
	s_and_b64 s[2:3], vcc, s[2:3]
	s_and_saveexec_b64 s[6:7], s[2:3]
	s_cbranch_execz .LBB25_3
; %bb.1:
	s_load_dwordx4 s[12:15], s[0:1], 0x8
	s_load_dwordx2 s[2:3], s[0:1], 0x18
	s_mov_b32 s5, 0
	s_lshl_b64 s[20:21], s[4:5], 3
	v_ashrrev_i32_e32 v3, 31, v2
	s_waitcnt lgkmcnt(0)
	s_add_u32 s12, s12, s20
	s_addc_u32 s13, s13, s21
	s_load_dwordx2 s[22:23], s[12:13], 0x0
	s_load_dwordx4 s[16:19], s[0:1], 0x28
	s_load_dwordx2 s[24:25], s[0:1], 0x38
	s_load_dwordx2 s[10:11], s[0:1], 0x58
	s_load_dwordx4 s[4:7], s[0:1], 0x48
	s_lshl_b64 s[12:13], s[14:15], 3
	s_waitcnt lgkmcnt(0)
	s_add_u32 s12, s22, s12
	s_addc_u32 s13, s23, s13
	s_add_u32 s14, s16, s20
	s_addc_u32 s15, s17, s21
	s_load_dwordx2 s[14:15], s[14:15], 0x0
	v_lshlrev_b64 v[4:5], 3, v[2:3]
	s_load_dword s8, s[0:1], 0x74
	s_lshl_b64 s[0:1], s[18:19], 3
	v_mul_lo_u32 v7, s25, v2
	s_waitcnt lgkmcnt(0)
	s_add_u32 s0, s14, s0
	s_addc_u32 s1, s15, s1
	s_add_u32 s4, s4, s20
	s_addc_u32 s5, s5, s21
	s_load_dwordx2 s[4:5], s[4:5], 0x0
	s_lshl_b64 s[6:7], s[6:7], 3
	v_mul_lo_u32 v8, s24, v3
	v_lshl_add_u64 v[0:1], s[12:13], 0, v[4:5]
	s_waitcnt lgkmcnt(0)
	s_add_u32 s4, s4, s6
	s_addc_u32 s5, s5, s7
	v_mad_u64_u32 v[2:3], s[6:7], s24, v2, 0
	v_add3_u32 v3, v3, v8, v7
	v_lshl_add_u64 v[2:3], v[2:3], 3, s[0:1]
	v_lshl_add_u64 v[4:5], s[4:5], 0, v[4:5]
	s_lshl_b32 s4, s8, 4
	s_mov_b64 s[0:1], 0
.LBB25_2:                               ; =>This Inner Loop Header: Depth=1
	v_ashrrev_i32_e32 v7, 31, v6
	v_mul_lo_u32 v12, s3, v6
	v_mad_u64_u32 v[8:9], s[6:7], s2, v6, 0
	v_mul_lo_u32 v13, s2, v7
	v_add3_u32 v9, v9, v13, v12
	v_lshl_add_u64 v[8:9], v[8:9], 3, v[0:1]
	flat_load_dwordx2 v[10:11], v[2:3]
	v_mul_lo_u32 v14, s11, v6
	flat_load_dwordx2 v[8:9], v[8:9]
	v_mad_u64_u32 v[12:13], s[6:7], s10, v6, 0
	v_mul_lo_u32 v7, s10, v7
	v_add_u32_e32 v6, s4, v6
	v_add3_u32 v13, v13, v7, v14
	v_cmp_le_i32_e32 vcc, s9, v6
	s_or_b64 s[0:1], vcc, s[0:1]
	v_lshl_add_u64 v[12:13], v[12:13], 3, v[4:5]
	s_waitcnt vmcnt(0) lgkmcnt(0)
	v_pk_mul_f32 v[14:15], v[10:11], v[8:9] op_sel:[1,1] op_sel_hi:[0,1]
	v_pk_fma_f32 v[16:17], v[10:11], v[8:9], v[14:15] neg_lo:[0,0,1] neg_hi:[0,0,1]
	v_pk_fma_f32 v[8:9], v[10:11], v[8:9], v[14:15] op_sel_hi:[1,0,1]
	s_nop 0
	v_mov_b32_e32 v17, v9
	flat_store_dwordx2 v[12:13], v[16:17]
	s_andn2_b64 exec, exec, s[0:1]
	s_cbranch_execnz .LBB25_2
.LBB25_3:
	s_endpgm
	.section	.rodata,"a",@progbits
	.p2align	6, 0x0
	.amdhsa_kernel _ZL19rocblas_dgmm_kernelILi16ELi16ELb0EPKPK19rocblas_complex_numIfEPKPS1_EviiT2_lllS9_lllT3_llli
		.amdhsa_group_segment_fixed_size 0
		.amdhsa_private_segment_fixed_size 0
		.amdhsa_kernarg_size 368
		.amdhsa_user_sgpr_count 2
		.amdhsa_user_sgpr_dispatch_ptr 0
		.amdhsa_user_sgpr_queue_ptr 0
		.amdhsa_user_sgpr_kernarg_segment_ptr 1
		.amdhsa_user_sgpr_dispatch_id 0
		.amdhsa_user_sgpr_kernarg_preload_length 0
		.amdhsa_user_sgpr_kernarg_preload_offset 0
		.amdhsa_user_sgpr_private_segment_size 0
		.amdhsa_uses_dynamic_stack 0
		.amdhsa_enable_private_segment 0
		.amdhsa_system_sgpr_workgroup_id_x 1
		.amdhsa_system_sgpr_workgroup_id_y 1
		.amdhsa_system_sgpr_workgroup_id_z 1
		.amdhsa_system_sgpr_workgroup_info 0
		.amdhsa_system_vgpr_workitem_id 1
		.amdhsa_next_free_vgpr 18
		.amdhsa_next_free_sgpr 26
		.amdhsa_accum_offset 20
		.amdhsa_reserve_vcc 1
		.amdhsa_float_round_mode_32 0
		.amdhsa_float_round_mode_16_64 0
		.amdhsa_float_denorm_mode_32 3
		.amdhsa_float_denorm_mode_16_64 3
		.amdhsa_dx10_clamp 1
		.amdhsa_ieee_mode 1
		.amdhsa_fp16_overflow 0
		.amdhsa_tg_split 0
		.amdhsa_exception_fp_ieee_invalid_op 0
		.amdhsa_exception_fp_denorm_src 0
		.amdhsa_exception_fp_ieee_div_zero 0
		.amdhsa_exception_fp_ieee_overflow 0
		.amdhsa_exception_fp_ieee_underflow 0
		.amdhsa_exception_fp_ieee_inexact 0
		.amdhsa_exception_int_div_zero 0
	.end_amdhsa_kernel
	.section	.text._ZL19rocblas_dgmm_kernelILi16ELi16ELb0EPKPK19rocblas_complex_numIfEPKPS1_EviiT2_lllS9_lllT3_llli,"axG",@progbits,_ZL19rocblas_dgmm_kernelILi16ELi16ELb0EPKPK19rocblas_complex_numIfEPKPS1_EviiT2_lllS9_lllT3_llli,comdat
.Lfunc_end25:
	.size	_ZL19rocblas_dgmm_kernelILi16ELi16ELb0EPKPK19rocblas_complex_numIfEPKPS1_EviiT2_lllS9_lllT3_llli, .Lfunc_end25-_ZL19rocblas_dgmm_kernelILi16ELi16ELb0EPKPK19rocblas_complex_numIfEPKPS1_EviiT2_lllS9_lllT3_llli
                                        ; -- End function
	.set _ZL19rocblas_dgmm_kernelILi16ELi16ELb0EPKPK19rocblas_complex_numIfEPKPS1_EviiT2_lllS9_lllT3_llli.num_vgpr, 18
	.set _ZL19rocblas_dgmm_kernelILi16ELi16ELb0EPKPK19rocblas_complex_numIfEPKPS1_EviiT2_lllS9_lllT3_llli.num_agpr, 0
	.set _ZL19rocblas_dgmm_kernelILi16ELi16ELb0EPKPK19rocblas_complex_numIfEPKPS1_EviiT2_lllS9_lllT3_llli.numbered_sgpr, 26
	.set _ZL19rocblas_dgmm_kernelILi16ELi16ELb0EPKPK19rocblas_complex_numIfEPKPS1_EviiT2_lllS9_lllT3_llli.num_named_barrier, 0
	.set _ZL19rocblas_dgmm_kernelILi16ELi16ELb0EPKPK19rocblas_complex_numIfEPKPS1_EviiT2_lllS9_lllT3_llli.private_seg_size, 0
	.set _ZL19rocblas_dgmm_kernelILi16ELi16ELb0EPKPK19rocblas_complex_numIfEPKPS1_EviiT2_lllS9_lllT3_llli.uses_vcc, 1
	.set _ZL19rocblas_dgmm_kernelILi16ELi16ELb0EPKPK19rocblas_complex_numIfEPKPS1_EviiT2_lllS9_lllT3_llli.uses_flat_scratch, 0
	.set _ZL19rocblas_dgmm_kernelILi16ELi16ELb0EPKPK19rocblas_complex_numIfEPKPS1_EviiT2_lllS9_lllT3_llli.has_dyn_sized_stack, 0
	.set _ZL19rocblas_dgmm_kernelILi16ELi16ELb0EPKPK19rocblas_complex_numIfEPKPS1_EviiT2_lllS9_lllT3_llli.has_recursion, 0
	.set _ZL19rocblas_dgmm_kernelILi16ELi16ELb0EPKPK19rocblas_complex_numIfEPKPS1_EviiT2_lllS9_lllT3_llli.has_indirect_call, 0
	.section	.AMDGPU.csdata,"",@progbits
; Kernel info:
; codeLenInByte = 476
; TotalNumSgprs: 32
; NumVgprs: 18
; NumAgprs: 0
; TotalNumVgprs: 18
; ScratchSize: 0
; MemoryBound: 0
; FloatMode: 240
; IeeeMode: 1
; LDSByteSize: 0 bytes/workgroup (compile time only)
; SGPRBlocks: 3
; VGPRBlocks: 2
; NumSGPRsForWavesPerEU: 32
; NumVGPRsForWavesPerEU: 18
; AccumOffset: 20
; Occupancy: 8
; WaveLimiterHint : 1
; COMPUTE_PGM_RSRC2:SCRATCH_EN: 0
; COMPUTE_PGM_RSRC2:USER_SGPR: 2
; COMPUTE_PGM_RSRC2:TRAP_HANDLER: 0
; COMPUTE_PGM_RSRC2:TGID_X_EN: 1
; COMPUTE_PGM_RSRC2:TGID_Y_EN: 1
; COMPUTE_PGM_RSRC2:TGID_Z_EN: 1
; COMPUTE_PGM_RSRC2:TIDIG_COMP_CNT: 1
; COMPUTE_PGM_RSRC3_GFX90A:ACCUM_OFFSET: 4
; COMPUTE_PGM_RSRC3_GFX90A:TG_SPLIT: 0
	.section	.text._ZL26rocblas_dgmm_gfx942_kernelILi32ELi32ELb1EPKPK19rocblas_complex_numIfEPKPS1_EviiT2_lllS9_lllT3_lll,"axG",@progbits,_ZL26rocblas_dgmm_gfx942_kernelILi32ELi32ELb1EPKPK19rocblas_complex_numIfEPKPS1_EviiT2_lllS9_lllT3_lll,comdat
	.globl	_ZL26rocblas_dgmm_gfx942_kernelILi32ELi32ELb1EPKPK19rocblas_complex_numIfEPKPS1_EviiT2_lllS9_lllT3_lll ; -- Begin function _ZL26rocblas_dgmm_gfx942_kernelILi32ELi32ELb1EPKPK19rocblas_complex_numIfEPKPS1_EviiT2_lllS9_lllT3_lll
	.p2align	8
	.type	_ZL26rocblas_dgmm_gfx942_kernelILi32ELi32ELb1EPKPK19rocblas_complex_numIfEPKPS1_EviiT2_lllS9_lllT3_lll,@function
_ZL26rocblas_dgmm_gfx942_kernelILi32ELi32ELb1EPKPK19rocblas_complex_numIfEPKPS1_EviiT2_lllS9_lllT3_lll: ; @_ZL26rocblas_dgmm_gfx942_kernelILi32ELi32ELb1EPKPK19rocblas_complex_numIfEPKPS1_EviiT2_lllS9_lllT3_lll
; %bb.0:
	s_endpgm
	.section	.rodata,"a",@progbits
	.p2align	6, 0x0
	.amdhsa_kernel _ZL26rocblas_dgmm_gfx942_kernelILi32ELi32ELb1EPKPK19rocblas_complex_numIfEPKPS1_EviiT2_lllS9_lllT3_lll
		.amdhsa_group_segment_fixed_size 0
		.amdhsa_private_segment_fixed_size 0
		.amdhsa_kernarg_size 104
		.amdhsa_user_sgpr_count 2
		.amdhsa_user_sgpr_dispatch_ptr 0
		.amdhsa_user_sgpr_queue_ptr 0
		.amdhsa_user_sgpr_kernarg_segment_ptr 1
		.amdhsa_user_sgpr_dispatch_id 0
		.amdhsa_user_sgpr_kernarg_preload_length 0
		.amdhsa_user_sgpr_kernarg_preload_offset 0
		.amdhsa_user_sgpr_private_segment_size 0
		.amdhsa_uses_dynamic_stack 0
		.amdhsa_enable_private_segment 0
		.amdhsa_system_sgpr_workgroup_id_x 1
		.amdhsa_system_sgpr_workgroup_id_y 0
		.amdhsa_system_sgpr_workgroup_id_z 0
		.amdhsa_system_sgpr_workgroup_info 0
		.amdhsa_system_vgpr_workitem_id 0
		.amdhsa_next_free_vgpr 1
		.amdhsa_next_free_sgpr 0
		.amdhsa_accum_offset 4
		.amdhsa_reserve_vcc 0
		.amdhsa_float_round_mode_32 0
		.amdhsa_float_round_mode_16_64 0
		.amdhsa_float_denorm_mode_32 3
		.amdhsa_float_denorm_mode_16_64 3
		.amdhsa_dx10_clamp 1
		.amdhsa_ieee_mode 1
		.amdhsa_fp16_overflow 0
		.amdhsa_tg_split 0
		.amdhsa_exception_fp_ieee_invalid_op 0
		.amdhsa_exception_fp_denorm_src 0
		.amdhsa_exception_fp_ieee_div_zero 0
		.amdhsa_exception_fp_ieee_overflow 0
		.amdhsa_exception_fp_ieee_underflow 0
		.amdhsa_exception_fp_ieee_inexact 0
		.amdhsa_exception_int_div_zero 0
	.end_amdhsa_kernel
	.section	.text._ZL26rocblas_dgmm_gfx942_kernelILi32ELi32ELb1EPKPK19rocblas_complex_numIfEPKPS1_EviiT2_lllS9_lllT3_lll,"axG",@progbits,_ZL26rocblas_dgmm_gfx942_kernelILi32ELi32ELb1EPKPK19rocblas_complex_numIfEPKPS1_EviiT2_lllS9_lllT3_lll,comdat
.Lfunc_end26:
	.size	_ZL26rocblas_dgmm_gfx942_kernelILi32ELi32ELb1EPKPK19rocblas_complex_numIfEPKPS1_EviiT2_lllS9_lllT3_lll, .Lfunc_end26-_ZL26rocblas_dgmm_gfx942_kernelILi32ELi32ELb1EPKPK19rocblas_complex_numIfEPKPS1_EviiT2_lllS9_lllT3_lll
                                        ; -- End function
	.set _ZL26rocblas_dgmm_gfx942_kernelILi32ELi32ELb1EPKPK19rocblas_complex_numIfEPKPS1_EviiT2_lllS9_lllT3_lll.num_vgpr, 0
	.set _ZL26rocblas_dgmm_gfx942_kernelILi32ELi32ELb1EPKPK19rocblas_complex_numIfEPKPS1_EviiT2_lllS9_lllT3_lll.num_agpr, 0
	.set _ZL26rocblas_dgmm_gfx942_kernelILi32ELi32ELb1EPKPK19rocblas_complex_numIfEPKPS1_EviiT2_lllS9_lllT3_lll.numbered_sgpr, 0
	.set _ZL26rocblas_dgmm_gfx942_kernelILi32ELi32ELb1EPKPK19rocblas_complex_numIfEPKPS1_EviiT2_lllS9_lllT3_lll.num_named_barrier, 0
	.set _ZL26rocblas_dgmm_gfx942_kernelILi32ELi32ELb1EPKPK19rocblas_complex_numIfEPKPS1_EviiT2_lllS9_lllT3_lll.private_seg_size, 0
	.set _ZL26rocblas_dgmm_gfx942_kernelILi32ELi32ELb1EPKPK19rocblas_complex_numIfEPKPS1_EviiT2_lllS9_lllT3_lll.uses_vcc, 0
	.set _ZL26rocblas_dgmm_gfx942_kernelILi32ELi32ELb1EPKPK19rocblas_complex_numIfEPKPS1_EviiT2_lllS9_lllT3_lll.uses_flat_scratch, 0
	.set _ZL26rocblas_dgmm_gfx942_kernelILi32ELi32ELb1EPKPK19rocblas_complex_numIfEPKPS1_EviiT2_lllS9_lllT3_lll.has_dyn_sized_stack, 0
	.set _ZL26rocblas_dgmm_gfx942_kernelILi32ELi32ELb1EPKPK19rocblas_complex_numIfEPKPS1_EviiT2_lllS9_lllT3_lll.has_recursion, 0
	.set _ZL26rocblas_dgmm_gfx942_kernelILi32ELi32ELb1EPKPK19rocblas_complex_numIfEPKPS1_EviiT2_lllS9_lllT3_lll.has_indirect_call, 0
	.section	.AMDGPU.csdata,"",@progbits
; Kernel info:
; codeLenInByte = 4
; TotalNumSgprs: 6
; NumVgprs: 0
; NumAgprs: 0
; TotalNumVgprs: 0
; ScratchSize: 0
; MemoryBound: 0
; FloatMode: 240
; IeeeMode: 1
; LDSByteSize: 0 bytes/workgroup (compile time only)
; SGPRBlocks: 0
; VGPRBlocks: 0
; NumSGPRsForWavesPerEU: 6
; NumVGPRsForWavesPerEU: 1
; AccumOffset: 4
; Occupancy: 8
; WaveLimiterHint : 0
; COMPUTE_PGM_RSRC2:SCRATCH_EN: 0
; COMPUTE_PGM_RSRC2:USER_SGPR: 2
; COMPUTE_PGM_RSRC2:TRAP_HANDLER: 0
; COMPUTE_PGM_RSRC2:TGID_X_EN: 1
; COMPUTE_PGM_RSRC2:TGID_Y_EN: 0
; COMPUTE_PGM_RSRC2:TGID_Z_EN: 0
; COMPUTE_PGM_RSRC2:TIDIG_COMP_CNT: 0
; COMPUTE_PGM_RSRC3_GFX90A:ACCUM_OFFSET: 0
; COMPUTE_PGM_RSRC3_GFX90A:TG_SPLIT: 0
	.section	.text._ZL19rocblas_dgmm_kernelILi16ELi16ELb1EPKPK19rocblas_complex_numIfEPKPS1_EviiT2_lllS9_lllT3_llli,"axG",@progbits,_ZL19rocblas_dgmm_kernelILi16ELi16ELb1EPKPK19rocblas_complex_numIfEPKPS1_EviiT2_lllS9_lllT3_llli,comdat
	.globl	_ZL19rocblas_dgmm_kernelILi16ELi16ELb1EPKPK19rocblas_complex_numIfEPKPS1_EviiT2_lllS9_lllT3_llli ; -- Begin function _ZL19rocblas_dgmm_kernelILi16ELi16ELb1EPKPK19rocblas_complex_numIfEPKPS1_EviiT2_lllS9_lllT3_llli
	.p2align	8
	.type	_ZL19rocblas_dgmm_kernelILi16ELi16ELb1EPKPK19rocblas_complex_numIfEPKPS1_EviiT2_lllS9_lllT3_llli,@function
_ZL19rocblas_dgmm_kernelILi16ELi16ELb1EPKPK19rocblas_complex_numIfEPKPS1_EviiT2_lllS9_lllT3_llli: ; @_ZL19rocblas_dgmm_kernelILi16ELi16ELb1EPKPK19rocblas_complex_numIfEPKPS1_EviiT2_lllS9_lllT3_llli
; %bb.0:
	s_load_dwordx2 s[6:7], s[0:1], 0x0
	v_and_b32_e32 v1, 0x3ff, v0
	v_bfe_u32 v0, v0, 10, 10
	v_lshl_add_u32 v2, s2, 4, v1
	v_lshl_add_u32 v4, s3, 4, v0
	s_waitcnt lgkmcnt(0)
	v_cmp_gt_i32_e32 vcc, s6, v2
	v_cmp_gt_i32_e64 s[2:3], s7, v4
	s_and_b64 s[2:3], vcc, s[2:3]
	s_and_saveexec_b64 s[8:9], s[2:3]
	s_cbranch_execz .LBB27_3
; %bb.1:
	s_load_dwordx4 s[8:11], s[0:1], 0x8
	s_load_dwordx2 s[2:3], s[0:1], 0x18
	s_mov_b32 s5, 0
	s_lshl_b64 s[20:21], s[4:5], 3
	v_ashrrev_i32_e32 v3, 31, v2
	s_waitcnt lgkmcnt(0)
	s_add_u32 s8, s8, s20
	s_addc_u32 s9, s9, s21
	s_load_dwordx2 s[16:17], s[8:9], 0x0
	s_load_dwordx4 s[12:15], s[0:1], 0x28
	s_load_dwordx2 s[4:5], s[0:1], 0x38
	s_lshl_b64 s[8:9], s[10:11], 3
	v_lshlrev_b64 v[2:3], 3, v[2:3]
	s_waitcnt lgkmcnt(0)
	s_add_u32 s22, s16, s8
	s_addc_u32 s23, s17, s9
	s_add_u32 s10, s12, s20
	s_addc_u32 s11, s13, s21
	s_load_dwordx2 s[12:13], s[10:11], 0x0
	s_load_dwordx2 s[8:9], s[0:1], 0x58
	s_load_dwordx4 s[16:19], s[0:1], 0x48
	s_lshl_b64 s[10:11], s[14:15], 3
	v_lshl_add_u64 v[0:1], s[22:23], 0, v[2:3]
	s_waitcnt lgkmcnt(0)
	s_add_u32 s10, s12, s10
	s_addc_u32 s11, s13, s11
	s_add_u32 s12, s16, s20
	s_addc_u32 s13, s17, s21
	s_load_dwordx2 s[14:15], s[12:13], 0x0
	s_load_dword s6, s[0:1], 0x74
	s_lshl_b64 s[0:1], s[18:19], 3
	s_waitcnt lgkmcnt(0)
	s_add_u32 s0, s14, s0
	s_addc_u32 s1, s15, s1
	s_lshl_b32 s6, s6, 4
	v_lshl_add_u64 v[2:3], s[0:1], 0, v[2:3]
	s_mov_b64 s[0:1], 0
.LBB27_2:                               ; =>This Inner Loop Header: Depth=1
	v_ashrrev_i32_e32 v5, 31, v4
	v_mul_lo_u32 v10, s3, v4
	v_mad_u64_u32 v[6:7], s[12:13], s2, v4, 0
	v_mul_lo_u32 v12, s2, v5
	v_mul_lo_u32 v11, s5, v4
	v_mad_u64_u32 v[8:9], s[12:13], s4, v4, 0
	v_mul_lo_u32 v13, s4, v5
	v_add3_u32 v7, v7, v12, v10
	v_add3_u32 v9, v9, v13, v11
	v_lshl_add_u64 v[6:7], v[6:7], 3, v[0:1]
	v_lshl_add_u64 v[8:9], v[8:9], 3, s[10:11]
	flat_load_dwordx2 v[10:11], v[6:7]
	flat_load_dwordx2 v[12:13], v[8:9]
	v_mul_lo_u32 v8, s9, v4
	v_mad_u64_u32 v[6:7], s[12:13], s8, v4, 0
	v_mul_lo_u32 v5, s8, v5
	v_add_u32_e32 v4, s6, v4
	v_add3_u32 v7, v7, v5, v8
	v_cmp_le_i32_e32 vcc, s7, v4
	s_or_b64 s[0:1], vcc, s[0:1]
	v_lshl_add_u64 v[6:7], v[6:7], 3, v[2:3]
	s_waitcnt vmcnt(0) lgkmcnt(0)
	v_pk_mul_f32 v[8:9], v[12:13], v[10:11] op_sel:[1,1] op_sel_hi:[0,1]
	v_pk_fma_f32 v[14:15], v[12:13], v[10:11], v[8:9] neg_lo:[0,0,1] neg_hi:[0,0,1]
	v_pk_fma_f32 v[8:9], v[12:13], v[10:11], v[8:9] op_sel_hi:[1,0,1]
	s_nop 0
	v_mov_b32_e32 v15, v9
	flat_store_dwordx2 v[6:7], v[14:15]
	s_andn2_b64 exec, exec, s[0:1]
	s_cbranch_execnz .LBB27_2
.LBB27_3:
	s_endpgm
	.section	.rodata,"a",@progbits
	.p2align	6, 0x0
	.amdhsa_kernel _ZL19rocblas_dgmm_kernelILi16ELi16ELb1EPKPK19rocblas_complex_numIfEPKPS1_EviiT2_lllS9_lllT3_llli
		.amdhsa_group_segment_fixed_size 0
		.amdhsa_private_segment_fixed_size 0
		.amdhsa_kernarg_size 368
		.amdhsa_user_sgpr_count 2
		.amdhsa_user_sgpr_dispatch_ptr 0
		.amdhsa_user_sgpr_queue_ptr 0
		.amdhsa_user_sgpr_kernarg_segment_ptr 1
		.amdhsa_user_sgpr_dispatch_id 0
		.amdhsa_user_sgpr_kernarg_preload_length 0
		.amdhsa_user_sgpr_kernarg_preload_offset 0
		.amdhsa_user_sgpr_private_segment_size 0
		.amdhsa_uses_dynamic_stack 0
		.amdhsa_enable_private_segment 0
		.amdhsa_system_sgpr_workgroup_id_x 1
		.amdhsa_system_sgpr_workgroup_id_y 1
		.amdhsa_system_sgpr_workgroup_id_z 1
		.amdhsa_system_sgpr_workgroup_info 0
		.amdhsa_system_vgpr_workitem_id 1
		.amdhsa_next_free_vgpr 16
		.amdhsa_next_free_sgpr 24
		.amdhsa_accum_offset 16
		.amdhsa_reserve_vcc 1
		.amdhsa_float_round_mode_32 0
		.amdhsa_float_round_mode_16_64 0
		.amdhsa_float_denorm_mode_32 3
		.amdhsa_float_denorm_mode_16_64 3
		.amdhsa_dx10_clamp 1
		.amdhsa_ieee_mode 1
		.amdhsa_fp16_overflow 0
		.amdhsa_tg_split 0
		.amdhsa_exception_fp_ieee_invalid_op 0
		.amdhsa_exception_fp_denorm_src 0
		.amdhsa_exception_fp_ieee_div_zero 0
		.amdhsa_exception_fp_ieee_overflow 0
		.amdhsa_exception_fp_ieee_underflow 0
		.amdhsa_exception_fp_ieee_inexact 0
		.amdhsa_exception_int_div_zero 0
	.end_amdhsa_kernel
	.section	.text._ZL19rocblas_dgmm_kernelILi16ELi16ELb1EPKPK19rocblas_complex_numIfEPKPS1_EviiT2_lllS9_lllT3_llli,"axG",@progbits,_ZL19rocblas_dgmm_kernelILi16ELi16ELb1EPKPK19rocblas_complex_numIfEPKPS1_EviiT2_lllS9_lllT3_llli,comdat
.Lfunc_end27:
	.size	_ZL19rocblas_dgmm_kernelILi16ELi16ELb1EPKPK19rocblas_complex_numIfEPKPS1_EviiT2_lllS9_lllT3_llli, .Lfunc_end27-_ZL19rocblas_dgmm_kernelILi16ELi16ELb1EPKPK19rocblas_complex_numIfEPKPS1_EviiT2_lllS9_lllT3_llli
                                        ; -- End function
	.set _ZL19rocblas_dgmm_kernelILi16ELi16ELb1EPKPK19rocblas_complex_numIfEPKPS1_EviiT2_lllS9_lllT3_llli.num_vgpr, 16
	.set _ZL19rocblas_dgmm_kernelILi16ELi16ELb1EPKPK19rocblas_complex_numIfEPKPS1_EviiT2_lllS9_lllT3_llli.num_agpr, 0
	.set _ZL19rocblas_dgmm_kernelILi16ELi16ELb1EPKPK19rocblas_complex_numIfEPKPS1_EviiT2_lllS9_lllT3_llli.numbered_sgpr, 24
	.set _ZL19rocblas_dgmm_kernelILi16ELi16ELb1EPKPK19rocblas_complex_numIfEPKPS1_EviiT2_lllS9_lllT3_llli.num_named_barrier, 0
	.set _ZL19rocblas_dgmm_kernelILi16ELi16ELb1EPKPK19rocblas_complex_numIfEPKPS1_EviiT2_lllS9_lllT3_llli.private_seg_size, 0
	.set _ZL19rocblas_dgmm_kernelILi16ELi16ELb1EPKPK19rocblas_complex_numIfEPKPS1_EviiT2_lllS9_lllT3_llli.uses_vcc, 1
	.set _ZL19rocblas_dgmm_kernelILi16ELi16ELb1EPKPK19rocblas_complex_numIfEPKPS1_EviiT2_lllS9_lllT3_llli.uses_flat_scratch, 0
	.set _ZL19rocblas_dgmm_kernelILi16ELi16ELb1EPKPK19rocblas_complex_numIfEPKPS1_EviiT2_lllS9_lllT3_llli.has_dyn_sized_stack, 0
	.set _ZL19rocblas_dgmm_kernelILi16ELi16ELb1EPKPK19rocblas_complex_numIfEPKPS1_EviiT2_lllS9_lllT3_llli.has_recursion, 0
	.set _ZL19rocblas_dgmm_kernelILi16ELi16ELb1EPKPK19rocblas_complex_numIfEPKPS1_EviiT2_lllS9_lllT3_llli.has_indirect_call, 0
	.section	.AMDGPU.csdata,"",@progbits
; Kernel info:
; codeLenInByte = 476
; TotalNumSgprs: 30
; NumVgprs: 16
; NumAgprs: 0
; TotalNumVgprs: 16
; ScratchSize: 0
; MemoryBound: 0
; FloatMode: 240
; IeeeMode: 1
; LDSByteSize: 0 bytes/workgroup (compile time only)
; SGPRBlocks: 3
; VGPRBlocks: 1
; NumSGPRsForWavesPerEU: 30
; NumVGPRsForWavesPerEU: 16
; AccumOffset: 16
; Occupancy: 8
; WaveLimiterHint : 1
; COMPUTE_PGM_RSRC2:SCRATCH_EN: 0
; COMPUTE_PGM_RSRC2:USER_SGPR: 2
; COMPUTE_PGM_RSRC2:TRAP_HANDLER: 0
; COMPUTE_PGM_RSRC2:TGID_X_EN: 1
; COMPUTE_PGM_RSRC2:TGID_Y_EN: 1
; COMPUTE_PGM_RSRC2:TGID_Z_EN: 1
; COMPUTE_PGM_RSRC2:TIDIG_COMP_CNT: 1
; COMPUTE_PGM_RSRC3_GFX90A:ACCUM_OFFSET: 3
; COMPUTE_PGM_RSRC3_GFX90A:TG_SPLIT: 0
	.section	.text._ZL26rocblas_dgmm_gfx942_kernelILi32ELi32ELb0EPKPK19rocblas_complex_numIdEPKPS1_EviiT2_lllS9_lllT3_lll,"axG",@progbits,_ZL26rocblas_dgmm_gfx942_kernelILi32ELi32ELb0EPKPK19rocblas_complex_numIdEPKPS1_EviiT2_lllS9_lllT3_lll,comdat
	.globl	_ZL26rocblas_dgmm_gfx942_kernelILi32ELi32ELb0EPKPK19rocblas_complex_numIdEPKPS1_EviiT2_lllS9_lllT3_lll ; -- Begin function _ZL26rocblas_dgmm_gfx942_kernelILi32ELi32ELb0EPKPK19rocblas_complex_numIdEPKPS1_EviiT2_lllS9_lllT3_lll
	.p2align	8
	.type	_ZL26rocblas_dgmm_gfx942_kernelILi32ELi32ELb0EPKPK19rocblas_complex_numIdEPKPS1_EviiT2_lllS9_lllT3_lll,@function
_ZL26rocblas_dgmm_gfx942_kernelILi32ELi32ELb0EPKPK19rocblas_complex_numIdEPKPS1_EviiT2_lllS9_lllT3_lll: ; @_ZL26rocblas_dgmm_gfx942_kernelILi32ELi32ELb0EPKPK19rocblas_complex_numIdEPKPS1_EviiT2_lllS9_lllT3_lll
; %bb.0:
	s_endpgm
	.section	.rodata,"a",@progbits
	.p2align	6, 0x0
	.amdhsa_kernel _ZL26rocblas_dgmm_gfx942_kernelILi32ELi32ELb0EPKPK19rocblas_complex_numIdEPKPS1_EviiT2_lllS9_lllT3_lll
		.amdhsa_group_segment_fixed_size 0
		.amdhsa_private_segment_fixed_size 0
		.amdhsa_kernarg_size 104
		.amdhsa_user_sgpr_count 2
		.amdhsa_user_sgpr_dispatch_ptr 0
		.amdhsa_user_sgpr_queue_ptr 0
		.amdhsa_user_sgpr_kernarg_segment_ptr 1
		.amdhsa_user_sgpr_dispatch_id 0
		.amdhsa_user_sgpr_kernarg_preload_length 0
		.amdhsa_user_sgpr_kernarg_preload_offset 0
		.amdhsa_user_sgpr_private_segment_size 0
		.amdhsa_uses_dynamic_stack 0
		.amdhsa_enable_private_segment 0
		.amdhsa_system_sgpr_workgroup_id_x 1
		.amdhsa_system_sgpr_workgroup_id_y 0
		.amdhsa_system_sgpr_workgroup_id_z 0
		.amdhsa_system_sgpr_workgroup_info 0
		.amdhsa_system_vgpr_workitem_id 0
		.amdhsa_next_free_vgpr 1
		.amdhsa_next_free_sgpr 0
		.amdhsa_accum_offset 4
		.amdhsa_reserve_vcc 0
		.amdhsa_float_round_mode_32 0
		.amdhsa_float_round_mode_16_64 0
		.amdhsa_float_denorm_mode_32 3
		.amdhsa_float_denorm_mode_16_64 3
		.amdhsa_dx10_clamp 1
		.amdhsa_ieee_mode 1
		.amdhsa_fp16_overflow 0
		.amdhsa_tg_split 0
		.amdhsa_exception_fp_ieee_invalid_op 0
		.amdhsa_exception_fp_denorm_src 0
		.amdhsa_exception_fp_ieee_div_zero 0
		.amdhsa_exception_fp_ieee_overflow 0
		.amdhsa_exception_fp_ieee_underflow 0
		.amdhsa_exception_fp_ieee_inexact 0
		.amdhsa_exception_int_div_zero 0
	.end_amdhsa_kernel
	.section	.text._ZL26rocblas_dgmm_gfx942_kernelILi32ELi32ELb0EPKPK19rocblas_complex_numIdEPKPS1_EviiT2_lllS9_lllT3_lll,"axG",@progbits,_ZL26rocblas_dgmm_gfx942_kernelILi32ELi32ELb0EPKPK19rocblas_complex_numIdEPKPS1_EviiT2_lllS9_lllT3_lll,comdat
.Lfunc_end28:
	.size	_ZL26rocblas_dgmm_gfx942_kernelILi32ELi32ELb0EPKPK19rocblas_complex_numIdEPKPS1_EviiT2_lllS9_lllT3_lll, .Lfunc_end28-_ZL26rocblas_dgmm_gfx942_kernelILi32ELi32ELb0EPKPK19rocblas_complex_numIdEPKPS1_EviiT2_lllS9_lllT3_lll
                                        ; -- End function
	.set _ZL26rocblas_dgmm_gfx942_kernelILi32ELi32ELb0EPKPK19rocblas_complex_numIdEPKPS1_EviiT2_lllS9_lllT3_lll.num_vgpr, 0
	.set _ZL26rocblas_dgmm_gfx942_kernelILi32ELi32ELb0EPKPK19rocblas_complex_numIdEPKPS1_EviiT2_lllS9_lllT3_lll.num_agpr, 0
	.set _ZL26rocblas_dgmm_gfx942_kernelILi32ELi32ELb0EPKPK19rocblas_complex_numIdEPKPS1_EviiT2_lllS9_lllT3_lll.numbered_sgpr, 0
	.set _ZL26rocblas_dgmm_gfx942_kernelILi32ELi32ELb0EPKPK19rocblas_complex_numIdEPKPS1_EviiT2_lllS9_lllT3_lll.num_named_barrier, 0
	.set _ZL26rocblas_dgmm_gfx942_kernelILi32ELi32ELb0EPKPK19rocblas_complex_numIdEPKPS1_EviiT2_lllS9_lllT3_lll.private_seg_size, 0
	.set _ZL26rocblas_dgmm_gfx942_kernelILi32ELi32ELb0EPKPK19rocblas_complex_numIdEPKPS1_EviiT2_lllS9_lllT3_lll.uses_vcc, 0
	.set _ZL26rocblas_dgmm_gfx942_kernelILi32ELi32ELb0EPKPK19rocblas_complex_numIdEPKPS1_EviiT2_lllS9_lllT3_lll.uses_flat_scratch, 0
	.set _ZL26rocblas_dgmm_gfx942_kernelILi32ELi32ELb0EPKPK19rocblas_complex_numIdEPKPS1_EviiT2_lllS9_lllT3_lll.has_dyn_sized_stack, 0
	.set _ZL26rocblas_dgmm_gfx942_kernelILi32ELi32ELb0EPKPK19rocblas_complex_numIdEPKPS1_EviiT2_lllS9_lllT3_lll.has_recursion, 0
	.set _ZL26rocblas_dgmm_gfx942_kernelILi32ELi32ELb0EPKPK19rocblas_complex_numIdEPKPS1_EviiT2_lllS9_lllT3_lll.has_indirect_call, 0
	.section	.AMDGPU.csdata,"",@progbits
; Kernel info:
; codeLenInByte = 4
; TotalNumSgprs: 6
; NumVgprs: 0
; NumAgprs: 0
; TotalNumVgprs: 0
; ScratchSize: 0
; MemoryBound: 0
; FloatMode: 240
; IeeeMode: 1
; LDSByteSize: 0 bytes/workgroup (compile time only)
; SGPRBlocks: 0
; VGPRBlocks: 0
; NumSGPRsForWavesPerEU: 6
; NumVGPRsForWavesPerEU: 1
; AccumOffset: 4
; Occupancy: 8
; WaveLimiterHint : 0
; COMPUTE_PGM_RSRC2:SCRATCH_EN: 0
; COMPUTE_PGM_RSRC2:USER_SGPR: 2
; COMPUTE_PGM_RSRC2:TRAP_HANDLER: 0
; COMPUTE_PGM_RSRC2:TGID_X_EN: 1
; COMPUTE_PGM_RSRC2:TGID_Y_EN: 0
; COMPUTE_PGM_RSRC2:TGID_Z_EN: 0
; COMPUTE_PGM_RSRC2:TIDIG_COMP_CNT: 0
; COMPUTE_PGM_RSRC3_GFX90A:ACCUM_OFFSET: 0
; COMPUTE_PGM_RSRC3_GFX90A:TG_SPLIT: 0
	.section	.text._ZL19rocblas_dgmm_kernelILi16ELi16ELb0EPKPK19rocblas_complex_numIdEPKPS1_EviiT2_lllS9_lllT3_llli,"axG",@progbits,_ZL19rocblas_dgmm_kernelILi16ELi16ELb0EPKPK19rocblas_complex_numIdEPKPS1_EviiT2_lllS9_lllT3_llli,comdat
	.globl	_ZL19rocblas_dgmm_kernelILi16ELi16ELb0EPKPK19rocblas_complex_numIdEPKPS1_EviiT2_lllS9_lllT3_llli ; -- Begin function _ZL19rocblas_dgmm_kernelILi16ELi16ELb0EPKPK19rocblas_complex_numIdEPKPS1_EviiT2_lllS9_lllT3_llli
	.p2align	8
	.type	_ZL19rocblas_dgmm_kernelILi16ELi16ELb0EPKPK19rocblas_complex_numIdEPKPS1_EviiT2_lllS9_lllT3_llli,@function
_ZL19rocblas_dgmm_kernelILi16ELi16ELb0EPKPK19rocblas_complex_numIdEPKPS1_EviiT2_lllS9_lllT3_llli: ; @_ZL19rocblas_dgmm_kernelILi16ELi16ELb0EPKPK19rocblas_complex_numIdEPKPS1_EviiT2_lllS9_lllT3_llli
; %bb.0:
	s_load_dwordx2 s[8:9], s[0:1], 0x0
	v_and_b32_e32 v1, 0x3ff, v0
	v_bfe_u32 v0, v0, 10, 10
	v_lshl_add_u32 v2, s2, 4, v1
	v_lshl_add_u32 v6, s3, 4, v0
	s_waitcnt lgkmcnt(0)
	v_cmp_gt_i32_e32 vcc, s8, v2
	v_cmp_gt_i32_e64 s[2:3], s9, v6
	s_and_b64 s[2:3], vcc, s[2:3]
	s_and_saveexec_b64 s[6:7], s[2:3]
	s_cbranch_execz .LBB29_3
; %bb.1:
	s_load_dwordx4 s[12:15], s[0:1], 0x8
	s_load_dwordx2 s[2:3], s[0:1], 0x18
	s_mov_b32 s5, 0
	s_lshl_b64 s[20:21], s[4:5], 3
	v_ashrrev_i32_e32 v3, 31, v2
	s_waitcnt lgkmcnt(0)
	s_add_u32 s12, s12, s20
	s_addc_u32 s13, s13, s21
	s_load_dwordx2 s[22:23], s[12:13], 0x0
	s_load_dwordx4 s[16:19], s[0:1], 0x28
	s_load_dwordx2 s[24:25], s[0:1], 0x38
	s_load_dwordx2 s[10:11], s[0:1], 0x58
	s_load_dwordx4 s[4:7], s[0:1], 0x48
	s_lshl_b64 s[12:13], s[14:15], 4
	s_waitcnt lgkmcnt(0)
	s_add_u32 s12, s22, s12
	s_addc_u32 s13, s23, s13
	s_add_u32 s14, s16, s20
	s_addc_u32 s15, s17, s21
	s_load_dwordx2 s[14:15], s[14:15], 0x0
	v_lshlrev_b64 v[4:5], 4, v[2:3]
	s_load_dword s8, s[0:1], 0x74
	s_lshl_b64 s[0:1], s[18:19], 4
	v_mul_lo_u32 v7, s25, v2
	s_waitcnt lgkmcnt(0)
	s_add_u32 s0, s14, s0
	s_addc_u32 s1, s15, s1
	s_add_u32 s4, s4, s20
	s_addc_u32 s5, s5, s21
	s_load_dwordx2 s[4:5], s[4:5], 0x0
	s_lshl_b64 s[6:7], s[6:7], 4
	v_mul_lo_u32 v8, s24, v3
	v_lshl_add_u64 v[0:1], s[12:13], 0, v[4:5]
	s_waitcnt lgkmcnt(0)
	s_add_u32 s4, s4, s6
	s_addc_u32 s5, s5, s7
	v_mad_u64_u32 v[2:3], s[6:7], s24, v2, 0
	v_add3_u32 v3, v3, v8, v7
	v_lshl_add_u64 v[2:3], v[2:3], 4, s[0:1]
	v_lshl_add_u64 v[4:5], s[4:5], 0, v[4:5]
	s_lshl_b32 s4, s8, 4
	s_mov_b64 s[0:1], 0
.LBB29_2:                               ; =>This Inner Loop Header: Depth=1
	v_ashrrev_i32_e32 v7, 31, v6
	v_mul_lo_u32 v14, s3, v6
	v_mad_u64_u32 v[12:13], s[6:7], s2, v6, 0
	v_mul_lo_u32 v15, s2, v7
	v_add3_u32 v13, v13, v15, v14
	v_lshl_add_u64 v[12:13], v[12:13], 4, v[0:1]
	flat_load_dwordx4 v[8:11], v[2:3]
	v_mul_lo_u32 v18, s11, v6
	flat_load_dwordx4 v[12:15], v[12:13]
	v_mad_u64_u32 v[16:17], s[6:7], s10, v6, 0
	v_mul_lo_u32 v7, s10, v7
	v_add_u32_e32 v6, s4, v6
	v_add3_u32 v17, v17, v7, v18
	v_cmp_le_i32_e32 vcc, s9, v6
	v_lshl_add_u64 v[18:19], v[16:17], 4, v[4:5]
	s_or_b64 s[0:1], vcc, s[0:1]
	s_waitcnt vmcnt(0) lgkmcnt(0)
	v_mul_f64 v[20:21], v[10:11], v[14:15]
	v_mul_f64 v[16:17], v[8:9], v[14:15]
	v_fma_f64 v[14:15], v[8:9], v[12:13], -v[20:21]
	v_fmac_f64_e32 v[16:17], v[10:11], v[12:13]
	flat_store_dwordx4 v[18:19], v[14:17]
	s_andn2_b64 exec, exec, s[0:1]
	s_cbranch_execnz .LBB29_2
.LBB29_3:
	s_endpgm
	.section	.rodata,"a",@progbits
	.p2align	6, 0x0
	.amdhsa_kernel _ZL19rocblas_dgmm_kernelILi16ELi16ELb0EPKPK19rocblas_complex_numIdEPKPS1_EviiT2_lllS9_lllT3_llli
		.amdhsa_group_segment_fixed_size 0
		.amdhsa_private_segment_fixed_size 0
		.amdhsa_kernarg_size 368
		.amdhsa_user_sgpr_count 2
		.amdhsa_user_sgpr_dispatch_ptr 0
		.amdhsa_user_sgpr_queue_ptr 0
		.amdhsa_user_sgpr_kernarg_segment_ptr 1
		.amdhsa_user_sgpr_dispatch_id 0
		.amdhsa_user_sgpr_kernarg_preload_length 0
		.amdhsa_user_sgpr_kernarg_preload_offset 0
		.amdhsa_user_sgpr_private_segment_size 0
		.amdhsa_uses_dynamic_stack 0
		.amdhsa_enable_private_segment 0
		.amdhsa_system_sgpr_workgroup_id_x 1
		.amdhsa_system_sgpr_workgroup_id_y 1
		.amdhsa_system_sgpr_workgroup_id_z 1
		.amdhsa_system_sgpr_workgroup_info 0
		.amdhsa_system_vgpr_workitem_id 1
		.amdhsa_next_free_vgpr 22
		.amdhsa_next_free_sgpr 26
		.amdhsa_accum_offset 24
		.amdhsa_reserve_vcc 1
		.amdhsa_float_round_mode_32 0
		.amdhsa_float_round_mode_16_64 0
		.amdhsa_float_denorm_mode_32 3
		.amdhsa_float_denorm_mode_16_64 3
		.amdhsa_dx10_clamp 1
		.amdhsa_ieee_mode 1
		.amdhsa_fp16_overflow 0
		.amdhsa_tg_split 0
		.amdhsa_exception_fp_ieee_invalid_op 0
		.amdhsa_exception_fp_denorm_src 0
		.amdhsa_exception_fp_ieee_div_zero 0
		.amdhsa_exception_fp_ieee_overflow 0
		.amdhsa_exception_fp_ieee_underflow 0
		.amdhsa_exception_fp_ieee_inexact 0
		.amdhsa_exception_int_div_zero 0
	.end_amdhsa_kernel
	.section	.text._ZL19rocblas_dgmm_kernelILi16ELi16ELb0EPKPK19rocblas_complex_numIdEPKPS1_EviiT2_lllS9_lllT3_llli,"axG",@progbits,_ZL19rocblas_dgmm_kernelILi16ELi16ELb0EPKPK19rocblas_complex_numIdEPKPS1_EviiT2_lllS9_lllT3_llli,comdat
.Lfunc_end29:
	.size	_ZL19rocblas_dgmm_kernelILi16ELi16ELb0EPKPK19rocblas_complex_numIdEPKPS1_EviiT2_lllS9_lllT3_llli, .Lfunc_end29-_ZL19rocblas_dgmm_kernelILi16ELi16ELb0EPKPK19rocblas_complex_numIdEPKPS1_EviiT2_lllS9_lllT3_llli
                                        ; -- End function
	.set _ZL19rocblas_dgmm_kernelILi16ELi16ELb0EPKPK19rocblas_complex_numIdEPKPS1_EviiT2_lllS9_lllT3_llli.num_vgpr, 22
	.set _ZL19rocblas_dgmm_kernelILi16ELi16ELb0EPKPK19rocblas_complex_numIdEPKPS1_EviiT2_lllS9_lllT3_llli.num_agpr, 0
	.set _ZL19rocblas_dgmm_kernelILi16ELi16ELb0EPKPK19rocblas_complex_numIdEPKPS1_EviiT2_lllS9_lllT3_llli.numbered_sgpr, 26
	.set _ZL19rocblas_dgmm_kernelILi16ELi16ELb0EPKPK19rocblas_complex_numIdEPKPS1_EviiT2_lllS9_lllT3_llli.num_named_barrier, 0
	.set _ZL19rocblas_dgmm_kernelILi16ELi16ELb0EPKPK19rocblas_complex_numIdEPKPS1_EviiT2_lllS9_lllT3_llli.private_seg_size, 0
	.set _ZL19rocblas_dgmm_kernelILi16ELi16ELb0EPKPK19rocblas_complex_numIdEPKPS1_EviiT2_lllS9_lllT3_llli.uses_vcc, 1
	.set _ZL19rocblas_dgmm_kernelILi16ELi16ELb0EPKPK19rocblas_complex_numIdEPKPS1_EviiT2_lllS9_lllT3_llli.uses_flat_scratch, 0
	.set _ZL19rocblas_dgmm_kernelILi16ELi16ELb0EPKPK19rocblas_complex_numIdEPKPS1_EviiT2_lllS9_lllT3_llli.has_dyn_sized_stack, 0
	.set _ZL19rocblas_dgmm_kernelILi16ELi16ELb0EPKPK19rocblas_complex_numIdEPKPS1_EviiT2_lllS9_lllT3_llli.has_recursion, 0
	.set _ZL19rocblas_dgmm_kernelILi16ELi16ELb0EPKPK19rocblas_complex_numIdEPKPS1_EviiT2_lllS9_lllT3_llli.has_indirect_call, 0
	.section	.AMDGPU.csdata,"",@progbits
; Kernel info:
; codeLenInByte = 472
; TotalNumSgprs: 32
; NumVgprs: 22
; NumAgprs: 0
; TotalNumVgprs: 22
; ScratchSize: 0
; MemoryBound: 0
; FloatMode: 240
; IeeeMode: 1
; LDSByteSize: 0 bytes/workgroup (compile time only)
; SGPRBlocks: 3
; VGPRBlocks: 2
; NumSGPRsForWavesPerEU: 32
; NumVGPRsForWavesPerEU: 22
; AccumOffset: 24
; Occupancy: 8
; WaveLimiterHint : 1
; COMPUTE_PGM_RSRC2:SCRATCH_EN: 0
; COMPUTE_PGM_RSRC2:USER_SGPR: 2
; COMPUTE_PGM_RSRC2:TRAP_HANDLER: 0
; COMPUTE_PGM_RSRC2:TGID_X_EN: 1
; COMPUTE_PGM_RSRC2:TGID_Y_EN: 1
; COMPUTE_PGM_RSRC2:TGID_Z_EN: 1
; COMPUTE_PGM_RSRC2:TIDIG_COMP_CNT: 1
; COMPUTE_PGM_RSRC3_GFX90A:ACCUM_OFFSET: 5
; COMPUTE_PGM_RSRC3_GFX90A:TG_SPLIT: 0
	.section	.text._ZL26rocblas_dgmm_gfx942_kernelILi32ELi32ELb1EPKPK19rocblas_complex_numIdEPKPS1_EviiT2_lllS9_lllT3_lll,"axG",@progbits,_ZL26rocblas_dgmm_gfx942_kernelILi32ELi32ELb1EPKPK19rocblas_complex_numIdEPKPS1_EviiT2_lllS9_lllT3_lll,comdat
	.globl	_ZL26rocblas_dgmm_gfx942_kernelILi32ELi32ELb1EPKPK19rocblas_complex_numIdEPKPS1_EviiT2_lllS9_lllT3_lll ; -- Begin function _ZL26rocblas_dgmm_gfx942_kernelILi32ELi32ELb1EPKPK19rocblas_complex_numIdEPKPS1_EviiT2_lllS9_lllT3_lll
	.p2align	8
	.type	_ZL26rocblas_dgmm_gfx942_kernelILi32ELi32ELb1EPKPK19rocblas_complex_numIdEPKPS1_EviiT2_lllS9_lllT3_lll,@function
_ZL26rocblas_dgmm_gfx942_kernelILi32ELi32ELb1EPKPK19rocblas_complex_numIdEPKPS1_EviiT2_lllS9_lllT3_lll: ; @_ZL26rocblas_dgmm_gfx942_kernelILi32ELi32ELb1EPKPK19rocblas_complex_numIdEPKPS1_EviiT2_lllS9_lllT3_lll
; %bb.0:
	s_endpgm
	.section	.rodata,"a",@progbits
	.p2align	6, 0x0
	.amdhsa_kernel _ZL26rocblas_dgmm_gfx942_kernelILi32ELi32ELb1EPKPK19rocblas_complex_numIdEPKPS1_EviiT2_lllS9_lllT3_lll
		.amdhsa_group_segment_fixed_size 0
		.amdhsa_private_segment_fixed_size 0
		.amdhsa_kernarg_size 104
		.amdhsa_user_sgpr_count 2
		.amdhsa_user_sgpr_dispatch_ptr 0
		.amdhsa_user_sgpr_queue_ptr 0
		.amdhsa_user_sgpr_kernarg_segment_ptr 1
		.amdhsa_user_sgpr_dispatch_id 0
		.amdhsa_user_sgpr_kernarg_preload_length 0
		.amdhsa_user_sgpr_kernarg_preload_offset 0
		.amdhsa_user_sgpr_private_segment_size 0
		.amdhsa_uses_dynamic_stack 0
		.amdhsa_enable_private_segment 0
		.amdhsa_system_sgpr_workgroup_id_x 1
		.amdhsa_system_sgpr_workgroup_id_y 0
		.amdhsa_system_sgpr_workgroup_id_z 0
		.amdhsa_system_sgpr_workgroup_info 0
		.amdhsa_system_vgpr_workitem_id 0
		.amdhsa_next_free_vgpr 1
		.amdhsa_next_free_sgpr 0
		.amdhsa_accum_offset 4
		.amdhsa_reserve_vcc 0
		.amdhsa_float_round_mode_32 0
		.amdhsa_float_round_mode_16_64 0
		.amdhsa_float_denorm_mode_32 3
		.amdhsa_float_denorm_mode_16_64 3
		.amdhsa_dx10_clamp 1
		.amdhsa_ieee_mode 1
		.amdhsa_fp16_overflow 0
		.amdhsa_tg_split 0
		.amdhsa_exception_fp_ieee_invalid_op 0
		.amdhsa_exception_fp_denorm_src 0
		.amdhsa_exception_fp_ieee_div_zero 0
		.amdhsa_exception_fp_ieee_overflow 0
		.amdhsa_exception_fp_ieee_underflow 0
		.amdhsa_exception_fp_ieee_inexact 0
		.amdhsa_exception_int_div_zero 0
	.end_amdhsa_kernel
	.section	.text._ZL26rocblas_dgmm_gfx942_kernelILi32ELi32ELb1EPKPK19rocblas_complex_numIdEPKPS1_EviiT2_lllS9_lllT3_lll,"axG",@progbits,_ZL26rocblas_dgmm_gfx942_kernelILi32ELi32ELb1EPKPK19rocblas_complex_numIdEPKPS1_EviiT2_lllS9_lllT3_lll,comdat
.Lfunc_end30:
	.size	_ZL26rocblas_dgmm_gfx942_kernelILi32ELi32ELb1EPKPK19rocblas_complex_numIdEPKPS1_EviiT2_lllS9_lllT3_lll, .Lfunc_end30-_ZL26rocblas_dgmm_gfx942_kernelILi32ELi32ELb1EPKPK19rocblas_complex_numIdEPKPS1_EviiT2_lllS9_lllT3_lll
                                        ; -- End function
	.set _ZL26rocblas_dgmm_gfx942_kernelILi32ELi32ELb1EPKPK19rocblas_complex_numIdEPKPS1_EviiT2_lllS9_lllT3_lll.num_vgpr, 0
	.set _ZL26rocblas_dgmm_gfx942_kernelILi32ELi32ELb1EPKPK19rocblas_complex_numIdEPKPS1_EviiT2_lllS9_lllT3_lll.num_agpr, 0
	.set _ZL26rocblas_dgmm_gfx942_kernelILi32ELi32ELb1EPKPK19rocblas_complex_numIdEPKPS1_EviiT2_lllS9_lllT3_lll.numbered_sgpr, 0
	.set _ZL26rocblas_dgmm_gfx942_kernelILi32ELi32ELb1EPKPK19rocblas_complex_numIdEPKPS1_EviiT2_lllS9_lllT3_lll.num_named_barrier, 0
	.set _ZL26rocblas_dgmm_gfx942_kernelILi32ELi32ELb1EPKPK19rocblas_complex_numIdEPKPS1_EviiT2_lllS9_lllT3_lll.private_seg_size, 0
	.set _ZL26rocblas_dgmm_gfx942_kernelILi32ELi32ELb1EPKPK19rocblas_complex_numIdEPKPS1_EviiT2_lllS9_lllT3_lll.uses_vcc, 0
	.set _ZL26rocblas_dgmm_gfx942_kernelILi32ELi32ELb1EPKPK19rocblas_complex_numIdEPKPS1_EviiT2_lllS9_lllT3_lll.uses_flat_scratch, 0
	.set _ZL26rocblas_dgmm_gfx942_kernelILi32ELi32ELb1EPKPK19rocblas_complex_numIdEPKPS1_EviiT2_lllS9_lllT3_lll.has_dyn_sized_stack, 0
	.set _ZL26rocblas_dgmm_gfx942_kernelILi32ELi32ELb1EPKPK19rocblas_complex_numIdEPKPS1_EviiT2_lllS9_lllT3_lll.has_recursion, 0
	.set _ZL26rocblas_dgmm_gfx942_kernelILi32ELi32ELb1EPKPK19rocblas_complex_numIdEPKPS1_EviiT2_lllS9_lllT3_lll.has_indirect_call, 0
	.section	.AMDGPU.csdata,"",@progbits
; Kernel info:
; codeLenInByte = 4
; TotalNumSgprs: 6
; NumVgprs: 0
; NumAgprs: 0
; TotalNumVgprs: 0
; ScratchSize: 0
; MemoryBound: 0
; FloatMode: 240
; IeeeMode: 1
; LDSByteSize: 0 bytes/workgroup (compile time only)
; SGPRBlocks: 0
; VGPRBlocks: 0
; NumSGPRsForWavesPerEU: 6
; NumVGPRsForWavesPerEU: 1
; AccumOffset: 4
; Occupancy: 8
; WaveLimiterHint : 0
; COMPUTE_PGM_RSRC2:SCRATCH_EN: 0
; COMPUTE_PGM_RSRC2:USER_SGPR: 2
; COMPUTE_PGM_RSRC2:TRAP_HANDLER: 0
; COMPUTE_PGM_RSRC2:TGID_X_EN: 1
; COMPUTE_PGM_RSRC2:TGID_Y_EN: 0
; COMPUTE_PGM_RSRC2:TGID_Z_EN: 0
; COMPUTE_PGM_RSRC2:TIDIG_COMP_CNT: 0
; COMPUTE_PGM_RSRC3_GFX90A:ACCUM_OFFSET: 0
; COMPUTE_PGM_RSRC3_GFX90A:TG_SPLIT: 0
	.section	.text._ZL19rocblas_dgmm_kernelILi16ELi16ELb1EPKPK19rocblas_complex_numIdEPKPS1_EviiT2_lllS9_lllT3_llli,"axG",@progbits,_ZL19rocblas_dgmm_kernelILi16ELi16ELb1EPKPK19rocblas_complex_numIdEPKPS1_EviiT2_lllS9_lllT3_llli,comdat
	.globl	_ZL19rocblas_dgmm_kernelILi16ELi16ELb1EPKPK19rocblas_complex_numIdEPKPS1_EviiT2_lllS9_lllT3_llli ; -- Begin function _ZL19rocblas_dgmm_kernelILi16ELi16ELb1EPKPK19rocblas_complex_numIdEPKPS1_EviiT2_lllS9_lllT3_llli
	.p2align	8
	.type	_ZL19rocblas_dgmm_kernelILi16ELi16ELb1EPKPK19rocblas_complex_numIdEPKPS1_EviiT2_lllS9_lllT3_llli,@function
_ZL19rocblas_dgmm_kernelILi16ELi16ELb1EPKPK19rocblas_complex_numIdEPKPS1_EviiT2_lllS9_lllT3_llli: ; @_ZL19rocblas_dgmm_kernelILi16ELi16ELb1EPKPK19rocblas_complex_numIdEPKPS1_EviiT2_lllS9_lllT3_llli
; %bb.0:
	s_load_dwordx2 s[6:7], s[0:1], 0x0
	v_and_b32_e32 v1, 0x3ff, v0
	v_bfe_u32 v0, v0, 10, 10
	v_lshl_add_u32 v2, s2, 4, v1
	v_lshl_add_u32 v4, s3, 4, v0
	s_waitcnt lgkmcnt(0)
	v_cmp_gt_i32_e32 vcc, s6, v2
	v_cmp_gt_i32_e64 s[2:3], s7, v4
	s_and_b64 s[2:3], vcc, s[2:3]
	s_and_saveexec_b64 s[8:9], s[2:3]
	s_cbranch_execz .LBB31_3
; %bb.1:
	s_load_dwordx4 s[8:11], s[0:1], 0x8
	s_load_dwordx2 s[2:3], s[0:1], 0x18
	s_mov_b32 s5, 0
	s_lshl_b64 s[20:21], s[4:5], 3
	v_ashrrev_i32_e32 v3, 31, v2
	s_waitcnt lgkmcnt(0)
	s_add_u32 s8, s8, s20
	s_addc_u32 s9, s9, s21
	s_load_dwordx2 s[16:17], s[8:9], 0x0
	s_load_dwordx4 s[12:15], s[0:1], 0x28
	s_load_dwordx2 s[4:5], s[0:1], 0x38
	s_lshl_b64 s[8:9], s[10:11], 4
	v_lshlrev_b64 v[2:3], 4, v[2:3]
	s_waitcnt lgkmcnt(0)
	s_add_u32 s22, s16, s8
	s_addc_u32 s23, s17, s9
	s_add_u32 s10, s12, s20
	s_addc_u32 s11, s13, s21
	s_load_dwordx2 s[12:13], s[10:11], 0x0
	s_load_dwordx2 s[8:9], s[0:1], 0x58
	s_load_dwordx4 s[16:19], s[0:1], 0x48
	s_lshl_b64 s[10:11], s[14:15], 4
	v_lshl_add_u64 v[0:1], s[22:23], 0, v[2:3]
	s_waitcnt lgkmcnt(0)
	s_add_u32 s10, s12, s10
	s_addc_u32 s11, s13, s11
	s_add_u32 s12, s16, s20
	s_addc_u32 s13, s17, s21
	s_load_dwordx2 s[14:15], s[12:13], 0x0
	s_load_dword s6, s[0:1], 0x74
	s_lshl_b64 s[0:1], s[18:19], 4
	s_waitcnt lgkmcnt(0)
	s_add_u32 s0, s14, s0
	s_addc_u32 s1, s15, s1
	s_lshl_b32 s6, s6, 4
	v_lshl_add_u64 v[2:3], s[0:1], 0, v[2:3]
	s_mov_b64 s[0:1], 0
.LBB31_2:                               ; =>This Inner Loop Header: Depth=1
	v_ashrrev_i32_e32 v5, 31, v4
	v_mul_lo_u32 v11, s5, v4
	v_mad_u64_u32 v[8:9], s[12:13], s4, v4, 0
	v_mul_lo_u32 v13, s4, v5
	v_mul_lo_u32 v10, s3, v4
	v_mad_u64_u32 v[6:7], s[12:13], s2, v4, 0
	v_mul_lo_u32 v12, s2, v5
	v_add3_u32 v9, v9, v13, v11
	v_add3_u32 v7, v7, v12, v10
	v_lshl_add_u64 v[16:17], v[8:9], 4, s[10:11]
	v_lshl_add_u64 v[14:15], v[6:7], 4, v[0:1]
	flat_load_dwordx4 v[6:9], v[16:17]
	flat_load_dwordx4 v[10:13], v[14:15]
	v_mul_lo_u32 v16, s9, v4
	v_mad_u64_u32 v[14:15], s[12:13], s8, v4, 0
	v_mul_lo_u32 v5, s8, v5
	v_add_u32_e32 v4, s6, v4
	v_add3_u32 v15, v15, v5, v16
	v_cmp_le_i32_e32 vcc, s7, v4
	v_lshl_add_u64 v[16:17], v[14:15], 4, v[2:3]
	s_or_b64 s[0:1], vcc, s[0:1]
	s_waitcnt vmcnt(0) lgkmcnt(0)
	v_mul_f64 v[18:19], v[8:9], v[12:13]
	v_mul_f64 v[14:15], v[6:7], v[12:13]
	v_fma_f64 v[12:13], v[6:7], v[10:11], -v[18:19]
	v_fmac_f64_e32 v[14:15], v[8:9], v[10:11]
	flat_store_dwordx4 v[16:17], v[12:15]
	s_andn2_b64 exec, exec, s[0:1]
	s_cbranch_execnz .LBB31_2
.LBB31_3:
	s_endpgm
	.section	.rodata,"a",@progbits
	.p2align	6, 0x0
	.amdhsa_kernel _ZL19rocblas_dgmm_kernelILi16ELi16ELb1EPKPK19rocblas_complex_numIdEPKPS1_EviiT2_lllS9_lllT3_llli
		.amdhsa_group_segment_fixed_size 0
		.amdhsa_private_segment_fixed_size 0
		.amdhsa_kernarg_size 368
		.amdhsa_user_sgpr_count 2
		.amdhsa_user_sgpr_dispatch_ptr 0
		.amdhsa_user_sgpr_queue_ptr 0
		.amdhsa_user_sgpr_kernarg_segment_ptr 1
		.amdhsa_user_sgpr_dispatch_id 0
		.amdhsa_user_sgpr_kernarg_preload_length 0
		.amdhsa_user_sgpr_kernarg_preload_offset 0
		.amdhsa_user_sgpr_private_segment_size 0
		.amdhsa_uses_dynamic_stack 0
		.amdhsa_enable_private_segment 0
		.amdhsa_system_sgpr_workgroup_id_x 1
		.amdhsa_system_sgpr_workgroup_id_y 1
		.amdhsa_system_sgpr_workgroup_id_z 1
		.amdhsa_system_sgpr_workgroup_info 0
		.amdhsa_system_vgpr_workitem_id 1
		.amdhsa_next_free_vgpr 20
		.amdhsa_next_free_sgpr 24
		.amdhsa_accum_offset 20
		.amdhsa_reserve_vcc 1
		.amdhsa_float_round_mode_32 0
		.amdhsa_float_round_mode_16_64 0
		.amdhsa_float_denorm_mode_32 3
		.amdhsa_float_denorm_mode_16_64 3
		.amdhsa_dx10_clamp 1
		.amdhsa_ieee_mode 1
		.amdhsa_fp16_overflow 0
		.amdhsa_tg_split 0
		.amdhsa_exception_fp_ieee_invalid_op 0
		.amdhsa_exception_fp_denorm_src 0
		.amdhsa_exception_fp_ieee_div_zero 0
		.amdhsa_exception_fp_ieee_overflow 0
		.amdhsa_exception_fp_ieee_underflow 0
		.amdhsa_exception_fp_ieee_inexact 0
		.amdhsa_exception_int_div_zero 0
	.end_amdhsa_kernel
	.section	.text._ZL19rocblas_dgmm_kernelILi16ELi16ELb1EPKPK19rocblas_complex_numIdEPKPS1_EviiT2_lllS9_lllT3_llli,"axG",@progbits,_ZL19rocblas_dgmm_kernelILi16ELi16ELb1EPKPK19rocblas_complex_numIdEPKPS1_EviiT2_lllS9_lllT3_llli,comdat
.Lfunc_end31:
	.size	_ZL19rocblas_dgmm_kernelILi16ELi16ELb1EPKPK19rocblas_complex_numIdEPKPS1_EviiT2_lllS9_lllT3_llli, .Lfunc_end31-_ZL19rocblas_dgmm_kernelILi16ELi16ELb1EPKPK19rocblas_complex_numIdEPKPS1_EviiT2_lllS9_lllT3_llli
                                        ; -- End function
	.set _ZL19rocblas_dgmm_kernelILi16ELi16ELb1EPKPK19rocblas_complex_numIdEPKPS1_EviiT2_lllS9_lllT3_llli.num_vgpr, 20
	.set _ZL19rocblas_dgmm_kernelILi16ELi16ELb1EPKPK19rocblas_complex_numIdEPKPS1_EviiT2_lllS9_lllT3_llli.num_agpr, 0
	.set _ZL19rocblas_dgmm_kernelILi16ELi16ELb1EPKPK19rocblas_complex_numIdEPKPS1_EviiT2_lllS9_lllT3_llli.numbered_sgpr, 24
	.set _ZL19rocblas_dgmm_kernelILi16ELi16ELb1EPKPK19rocblas_complex_numIdEPKPS1_EviiT2_lllS9_lllT3_llli.num_named_barrier, 0
	.set _ZL19rocblas_dgmm_kernelILi16ELi16ELb1EPKPK19rocblas_complex_numIdEPKPS1_EviiT2_lllS9_lllT3_llli.private_seg_size, 0
	.set _ZL19rocblas_dgmm_kernelILi16ELi16ELb1EPKPK19rocblas_complex_numIdEPKPS1_EviiT2_lllS9_lllT3_llli.uses_vcc, 1
	.set _ZL19rocblas_dgmm_kernelILi16ELi16ELb1EPKPK19rocblas_complex_numIdEPKPS1_EviiT2_lllS9_lllT3_llli.uses_flat_scratch, 0
	.set _ZL19rocblas_dgmm_kernelILi16ELi16ELb1EPKPK19rocblas_complex_numIdEPKPS1_EviiT2_lllS9_lllT3_llli.has_dyn_sized_stack, 0
	.set _ZL19rocblas_dgmm_kernelILi16ELi16ELb1EPKPK19rocblas_complex_numIdEPKPS1_EviiT2_lllS9_lllT3_llli.has_recursion, 0
	.set _ZL19rocblas_dgmm_kernelILi16ELi16ELb1EPKPK19rocblas_complex_numIdEPKPS1_EviiT2_lllS9_lllT3_llli.has_indirect_call, 0
	.section	.AMDGPU.csdata,"",@progbits
; Kernel info:
; codeLenInByte = 472
; TotalNumSgprs: 30
; NumVgprs: 20
; NumAgprs: 0
; TotalNumVgprs: 20
; ScratchSize: 0
; MemoryBound: 0
; FloatMode: 240
; IeeeMode: 1
; LDSByteSize: 0 bytes/workgroup (compile time only)
; SGPRBlocks: 3
; VGPRBlocks: 2
; NumSGPRsForWavesPerEU: 30
; NumVGPRsForWavesPerEU: 20
; AccumOffset: 20
; Occupancy: 8
; WaveLimiterHint : 1
; COMPUTE_PGM_RSRC2:SCRATCH_EN: 0
; COMPUTE_PGM_RSRC2:USER_SGPR: 2
; COMPUTE_PGM_RSRC2:TRAP_HANDLER: 0
; COMPUTE_PGM_RSRC2:TGID_X_EN: 1
; COMPUTE_PGM_RSRC2:TGID_Y_EN: 1
; COMPUTE_PGM_RSRC2:TGID_Z_EN: 1
; COMPUTE_PGM_RSRC2:TIDIG_COMP_CNT: 1
; COMPUTE_PGM_RSRC3_GFX90A:ACCUM_OFFSET: 4
; COMPUTE_PGM_RSRC3_GFX90A:TG_SPLIT: 0
	.section	.AMDGPU.gpr_maximums,"",@progbits
	.set amdgpu.max_num_vgpr, 0
	.set amdgpu.max_num_agpr, 0
	.set amdgpu.max_num_sgpr, 0
	.section	.AMDGPU.csdata,"",@progbits
	.type	__hip_cuid_991c5f9854c44e9,@object ; @__hip_cuid_991c5f9854c44e9
	.section	.bss,"aw",@nobits
	.globl	__hip_cuid_991c5f9854c44e9
__hip_cuid_991c5f9854c44e9:
	.byte	0                               ; 0x0
	.size	__hip_cuid_991c5f9854c44e9, 1

	.ident	"AMD clang version 22.0.0git (https://github.com/RadeonOpenCompute/llvm-project roc-7.2.4 26084 f58b06dce1f9c15707c5f808fd002e18c2accf7e)"
	.section	".note.GNU-stack","",@progbits
	.addrsig
	.addrsig_sym __hip_cuid_991c5f9854c44e9
	.amdgpu_metadata
---
amdhsa.kernels:
  - .agpr_count:     0
    .args:
      - .offset:         0
        .size:           4
        .value_kind:     by_value
      - .offset:         4
        .size:           4
        .value_kind:     by_value
      - .address_space:  global
        .offset:         8
        .size:           8
        .value_kind:     global_buffer
      - .offset:         16
        .size:           8
        .value_kind:     by_value
      - .offset:         24
        .size:           8
        .value_kind:     by_value
      - .offset:         32
        .size:           8
        .value_kind:     by_value
      - .address_space:  global
        .offset:         40
        .size:           8
        .value_kind:     global_buffer
      - .offset:         48
        .size:           8
        .value_kind:     by_value
      - .offset:         56
        .size:           8
        .value_kind:     by_value
      - .offset:         64
        .size:           8
        .value_kind:     by_value
      - .address_space:  global
        .offset:         72
        .size:           8
        .value_kind:     global_buffer
      - .offset:         80
        .size:           8
        .value_kind:     by_value
      - .offset:         88
        .size:           8
        .value_kind:     by_value
      - .offset:         96
        .size:           8
        .value_kind:     by_value
    .group_segment_fixed_size: 0
    .kernarg_segment_align: 8
    .kernarg_segment_size: 104
    .language:       OpenCL C
    .language_version:
      - 2
      - 0
    .max_flat_workgroup_size: 1024
    .name:           _ZL26rocblas_dgmm_gfx942_kernelILi32ELi32ELb0EPKfPfEviiT2_lllS3_lllT3_lll
    .private_segment_fixed_size: 0
    .sgpr_count:     6
    .sgpr_spill_count: 0
    .symbol:         _ZL26rocblas_dgmm_gfx942_kernelILi32ELi32ELb0EPKfPfEviiT2_lllS3_lllT3_lll.kd
    .uniform_work_group_size: 1
    .uses_dynamic_stack: false
    .vgpr_count:     0
    .vgpr_spill_count: 0
    .wavefront_size: 64
  - .agpr_count:     0
    .args:
      - .offset:         0
        .size:           4
        .value_kind:     by_value
      - .offset:         4
        .size:           4
        .value_kind:     by_value
      - .address_space:  global
        .offset:         8
        .size:           8
        .value_kind:     global_buffer
      - .offset:         16
        .size:           8
        .value_kind:     by_value
      - .offset:         24
        .size:           8
        .value_kind:     by_value
      - .offset:         32
        .size:           8
        .value_kind:     by_value
      - .address_space:  global
        .offset:         40
        .size:           8
        .value_kind:     global_buffer
      - .offset:         48
        .size:           8
        .value_kind:     by_value
      - .offset:         56
        .size:           8
        .value_kind:     by_value
      - .offset:         64
        .size:           8
        .value_kind:     by_value
      - .address_space:  global
        .offset:         72
        .size:           8
        .value_kind:     global_buffer
      - .offset:         80
        .size:           8
        .value_kind:     by_value
      - .offset:         88
        .size:           8
        .value_kind:     by_value
      - .offset:         96
        .size:           8
        .value_kind:     by_value
      - .offset:         104
        .size:           4
        .value_kind:     by_value
      - .offset:         112
        .size:           4
        .value_kind:     hidden_block_count_x
      - .offset:         116
        .size:           4
        .value_kind:     hidden_block_count_y
      - .offset:         120
        .size:           4
        .value_kind:     hidden_block_count_z
      - .offset:         124
        .size:           2
        .value_kind:     hidden_group_size_x
      - .offset:         126
        .size:           2
        .value_kind:     hidden_group_size_y
      - .offset:         128
        .size:           2
        .value_kind:     hidden_group_size_z
      - .offset:         130
        .size:           2
        .value_kind:     hidden_remainder_x
      - .offset:         132
        .size:           2
        .value_kind:     hidden_remainder_y
      - .offset:         134
        .size:           2
        .value_kind:     hidden_remainder_z
      - .offset:         152
        .size:           8
        .value_kind:     hidden_global_offset_x
      - .offset:         160
        .size:           8
        .value_kind:     hidden_global_offset_y
      - .offset:         168
        .size:           8
        .value_kind:     hidden_global_offset_z
      - .offset:         176
        .size:           2
        .value_kind:     hidden_grid_dims
    .group_segment_fixed_size: 0
    .kernarg_segment_align: 8
    .kernarg_segment_size: 368
    .language:       OpenCL C
    .language_version:
      - 2
      - 0
    .max_flat_workgroup_size: 256
    .name:           _ZL19rocblas_dgmm_kernelILi16ELi16ELb0EPKfPfEviiT2_lllS3_lllT3_llli
    .private_segment_fixed_size: 0
    .sgpr_count:     38
    .sgpr_spill_count: 0
    .symbol:         _ZL19rocblas_dgmm_kernelILi16ELi16ELb0EPKfPfEviiT2_lllS3_lllT3_llli.kd
    .uniform_work_group_size: 1
    .uses_dynamic_stack: false
    .vgpr_count:     13
    .vgpr_spill_count: 0
    .wavefront_size: 64
  - .agpr_count:     0
    .args:
      - .offset:         0
        .size:           4
        .value_kind:     by_value
      - .offset:         4
        .size:           4
        .value_kind:     by_value
      - .address_space:  global
        .offset:         8
        .size:           8
        .value_kind:     global_buffer
      - .offset:         16
        .size:           8
        .value_kind:     by_value
      - .offset:         24
        .size:           8
        .value_kind:     by_value
      - .offset:         32
        .size:           8
        .value_kind:     by_value
      - .address_space:  global
        .offset:         40
        .size:           8
        .value_kind:     global_buffer
      - .offset:         48
        .size:           8
        .value_kind:     by_value
      - .offset:         56
        .size:           8
        .value_kind:     by_value
      - .offset:         64
        .size:           8
        .value_kind:     by_value
      - .address_space:  global
        .offset:         72
        .size:           8
        .value_kind:     global_buffer
      - .offset:         80
        .size:           8
        .value_kind:     by_value
      - .offset:         88
        .size:           8
        .value_kind:     by_value
      - .offset:         96
        .size:           8
        .value_kind:     by_value
    .group_segment_fixed_size: 0
    .kernarg_segment_align: 8
    .kernarg_segment_size: 104
    .language:       OpenCL C
    .language_version:
      - 2
      - 0
    .max_flat_workgroup_size: 1024
    .name:           _ZL26rocblas_dgmm_gfx942_kernelILi32ELi32ELb1EPKfPfEviiT2_lllS3_lllT3_lll
    .private_segment_fixed_size: 0
    .sgpr_count:     6
    .sgpr_spill_count: 0
    .symbol:         _ZL26rocblas_dgmm_gfx942_kernelILi32ELi32ELb1EPKfPfEviiT2_lllS3_lllT3_lll.kd
    .uniform_work_group_size: 1
    .uses_dynamic_stack: false
    .vgpr_count:     0
    .vgpr_spill_count: 0
    .wavefront_size: 64
  - .agpr_count:     0
    .args:
      - .offset:         0
        .size:           4
        .value_kind:     by_value
      - .offset:         4
        .size:           4
        .value_kind:     by_value
      - .address_space:  global
        .offset:         8
        .size:           8
        .value_kind:     global_buffer
      - .offset:         16
        .size:           8
        .value_kind:     by_value
      - .offset:         24
        .size:           8
        .value_kind:     by_value
      - .offset:         32
        .size:           8
        .value_kind:     by_value
      - .address_space:  global
        .offset:         40
        .size:           8
        .value_kind:     global_buffer
      - .offset:         48
        .size:           8
        .value_kind:     by_value
      - .offset:         56
        .size:           8
        .value_kind:     by_value
      - .offset:         64
        .size:           8
        .value_kind:     by_value
      - .address_space:  global
        .offset:         72
        .size:           8
        .value_kind:     global_buffer
      - .offset:         80
        .size:           8
        .value_kind:     by_value
      - .offset:         88
        .size:           8
        .value_kind:     by_value
      - .offset:         96
        .size:           8
        .value_kind:     by_value
      - .offset:         104
        .size:           4
        .value_kind:     by_value
      - .offset:         112
        .size:           4
        .value_kind:     hidden_block_count_x
      - .offset:         116
        .size:           4
        .value_kind:     hidden_block_count_y
      - .offset:         120
        .size:           4
        .value_kind:     hidden_block_count_z
      - .offset:         124
        .size:           2
        .value_kind:     hidden_group_size_x
      - .offset:         126
        .size:           2
        .value_kind:     hidden_group_size_y
      - .offset:         128
        .size:           2
        .value_kind:     hidden_group_size_z
      - .offset:         130
        .size:           2
        .value_kind:     hidden_remainder_x
      - .offset:         132
        .size:           2
        .value_kind:     hidden_remainder_y
      - .offset:         134
        .size:           2
        .value_kind:     hidden_remainder_z
      - .offset:         152
        .size:           8
        .value_kind:     hidden_global_offset_x
      - .offset:         160
        .size:           8
        .value_kind:     hidden_global_offset_y
      - .offset:         168
        .size:           8
        .value_kind:     hidden_global_offset_z
      - .offset:         176
        .size:           2
        .value_kind:     hidden_grid_dims
    .group_segment_fixed_size: 0
    .kernarg_segment_align: 8
    .kernarg_segment_size: 368
    .language:       OpenCL C
    .language_version:
      - 2
      - 0
    .max_flat_workgroup_size: 256
    .name:           _ZL19rocblas_dgmm_kernelILi16ELi16ELb1EPKfPfEviiT2_lllS3_lllT3_llli
    .private_segment_fixed_size: 0
    .sgpr_count:     38
    .sgpr_spill_count: 0
    .symbol:         _ZL19rocblas_dgmm_kernelILi16ELi16ELb1EPKfPfEviiT2_lllS3_lllT3_llli.kd
    .uniform_work_group_size: 1
    .uses_dynamic_stack: false
    .vgpr_count:     14
    .vgpr_spill_count: 0
    .wavefront_size: 64
  - .agpr_count:     0
    .args:
      - .offset:         0
        .size:           4
        .value_kind:     by_value
      - .offset:         4
        .size:           4
        .value_kind:     by_value
      - .address_space:  global
        .offset:         8
        .size:           8
        .value_kind:     global_buffer
      - .offset:         16
        .size:           8
        .value_kind:     by_value
      - .offset:         24
        .size:           8
        .value_kind:     by_value
      - .offset:         32
        .size:           8
        .value_kind:     by_value
      - .address_space:  global
        .offset:         40
        .size:           8
        .value_kind:     global_buffer
      - .offset:         48
        .size:           8
        .value_kind:     by_value
      - .offset:         56
        .size:           8
        .value_kind:     by_value
      - .offset:         64
        .size:           8
        .value_kind:     by_value
      - .address_space:  global
        .offset:         72
        .size:           8
        .value_kind:     global_buffer
      - .offset:         80
        .size:           8
        .value_kind:     by_value
      - .offset:         88
        .size:           8
        .value_kind:     by_value
      - .offset:         96
        .size:           8
        .value_kind:     by_value
    .group_segment_fixed_size: 0
    .kernarg_segment_align: 8
    .kernarg_segment_size: 104
    .language:       OpenCL C
    .language_version:
      - 2
      - 0
    .max_flat_workgroup_size: 1024
    .name:           _ZL26rocblas_dgmm_gfx942_kernelILi32ELi32ELb0EPKdPdEviiT2_lllS3_lllT3_lll
    .private_segment_fixed_size: 0
    .sgpr_count:     6
    .sgpr_spill_count: 0
    .symbol:         _ZL26rocblas_dgmm_gfx942_kernelILi32ELi32ELb0EPKdPdEviiT2_lllS3_lllT3_lll.kd
    .uniform_work_group_size: 1
    .uses_dynamic_stack: false
    .vgpr_count:     0
    .vgpr_spill_count: 0
    .wavefront_size: 64
  - .agpr_count:     0
    .args:
      - .offset:         0
        .size:           4
        .value_kind:     by_value
      - .offset:         4
        .size:           4
        .value_kind:     by_value
      - .address_space:  global
        .offset:         8
        .size:           8
        .value_kind:     global_buffer
      - .offset:         16
        .size:           8
        .value_kind:     by_value
      - .offset:         24
        .size:           8
        .value_kind:     by_value
      - .offset:         32
        .size:           8
        .value_kind:     by_value
      - .address_space:  global
        .offset:         40
        .size:           8
        .value_kind:     global_buffer
      - .offset:         48
        .size:           8
        .value_kind:     by_value
      - .offset:         56
        .size:           8
        .value_kind:     by_value
      - .offset:         64
        .size:           8
        .value_kind:     by_value
      - .address_space:  global
        .offset:         72
        .size:           8
        .value_kind:     global_buffer
      - .offset:         80
        .size:           8
        .value_kind:     by_value
      - .offset:         88
        .size:           8
        .value_kind:     by_value
      - .offset:         96
        .size:           8
        .value_kind:     by_value
      - .offset:         104
        .size:           4
        .value_kind:     by_value
      - .offset:         112
        .size:           4
        .value_kind:     hidden_block_count_x
      - .offset:         116
        .size:           4
        .value_kind:     hidden_block_count_y
      - .offset:         120
        .size:           4
        .value_kind:     hidden_block_count_z
      - .offset:         124
        .size:           2
        .value_kind:     hidden_group_size_x
      - .offset:         126
        .size:           2
        .value_kind:     hidden_group_size_y
      - .offset:         128
        .size:           2
        .value_kind:     hidden_group_size_z
      - .offset:         130
        .size:           2
        .value_kind:     hidden_remainder_x
      - .offset:         132
        .size:           2
        .value_kind:     hidden_remainder_y
      - .offset:         134
        .size:           2
        .value_kind:     hidden_remainder_z
      - .offset:         152
        .size:           8
        .value_kind:     hidden_global_offset_x
      - .offset:         160
        .size:           8
        .value_kind:     hidden_global_offset_y
      - .offset:         168
        .size:           8
        .value_kind:     hidden_global_offset_z
      - .offset:         176
        .size:           2
        .value_kind:     hidden_grid_dims
    .group_segment_fixed_size: 0
    .kernarg_segment_align: 8
    .kernarg_segment_size: 368
    .language:       OpenCL C
    .language_version:
      - 2
      - 0
    .max_flat_workgroup_size: 256
    .name:           _ZL19rocblas_dgmm_kernelILi16ELi16ELb0EPKdPdEviiT2_lllS3_lllT3_llli
    .private_segment_fixed_size: 0
    .sgpr_count:     38
    .sgpr_spill_count: 0
    .symbol:         _ZL19rocblas_dgmm_kernelILi16ELi16ELb0EPKdPdEviiT2_lllS3_lllT3_llli.kd
    .uniform_work_group_size: 1
    .uses_dynamic_stack: false
    .vgpr_count:     15
    .vgpr_spill_count: 0
    .wavefront_size: 64
  - .agpr_count:     0
    .args:
      - .offset:         0
        .size:           4
        .value_kind:     by_value
      - .offset:         4
        .size:           4
        .value_kind:     by_value
      - .address_space:  global
        .offset:         8
        .size:           8
        .value_kind:     global_buffer
      - .offset:         16
        .size:           8
        .value_kind:     by_value
      - .offset:         24
        .size:           8
        .value_kind:     by_value
      - .offset:         32
        .size:           8
        .value_kind:     by_value
      - .address_space:  global
        .offset:         40
        .size:           8
        .value_kind:     global_buffer
      - .offset:         48
        .size:           8
        .value_kind:     by_value
      - .offset:         56
        .size:           8
        .value_kind:     by_value
      - .offset:         64
        .size:           8
        .value_kind:     by_value
      - .address_space:  global
        .offset:         72
        .size:           8
        .value_kind:     global_buffer
      - .offset:         80
        .size:           8
        .value_kind:     by_value
      - .offset:         88
        .size:           8
        .value_kind:     by_value
      - .offset:         96
        .size:           8
        .value_kind:     by_value
    .group_segment_fixed_size: 0
    .kernarg_segment_align: 8
    .kernarg_segment_size: 104
    .language:       OpenCL C
    .language_version:
      - 2
      - 0
    .max_flat_workgroup_size: 1024
    .name:           _ZL26rocblas_dgmm_gfx942_kernelILi32ELi32ELb1EPKdPdEviiT2_lllS3_lllT3_lll
    .private_segment_fixed_size: 0
    .sgpr_count:     6
    .sgpr_spill_count: 0
    .symbol:         _ZL26rocblas_dgmm_gfx942_kernelILi32ELi32ELb1EPKdPdEviiT2_lllS3_lllT3_lll.kd
    .uniform_work_group_size: 1
    .uses_dynamic_stack: false
    .vgpr_count:     0
    .vgpr_spill_count: 0
    .wavefront_size: 64
  - .agpr_count:     0
    .args:
      - .offset:         0
        .size:           4
        .value_kind:     by_value
      - .offset:         4
        .size:           4
        .value_kind:     by_value
      - .address_space:  global
        .offset:         8
        .size:           8
        .value_kind:     global_buffer
      - .offset:         16
        .size:           8
        .value_kind:     by_value
      - .offset:         24
        .size:           8
        .value_kind:     by_value
      - .offset:         32
        .size:           8
        .value_kind:     by_value
      - .address_space:  global
        .offset:         40
        .size:           8
        .value_kind:     global_buffer
      - .offset:         48
        .size:           8
        .value_kind:     by_value
      - .offset:         56
        .size:           8
        .value_kind:     by_value
      - .offset:         64
        .size:           8
        .value_kind:     by_value
      - .address_space:  global
        .offset:         72
        .size:           8
        .value_kind:     global_buffer
      - .offset:         80
        .size:           8
        .value_kind:     by_value
      - .offset:         88
        .size:           8
        .value_kind:     by_value
      - .offset:         96
        .size:           8
        .value_kind:     by_value
      - .offset:         104
        .size:           4
        .value_kind:     by_value
      - .offset:         112
        .size:           4
        .value_kind:     hidden_block_count_x
      - .offset:         116
        .size:           4
        .value_kind:     hidden_block_count_y
      - .offset:         120
        .size:           4
        .value_kind:     hidden_block_count_z
      - .offset:         124
        .size:           2
        .value_kind:     hidden_group_size_x
      - .offset:         126
        .size:           2
        .value_kind:     hidden_group_size_y
      - .offset:         128
        .size:           2
        .value_kind:     hidden_group_size_z
      - .offset:         130
        .size:           2
        .value_kind:     hidden_remainder_x
      - .offset:         132
        .size:           2
        .value_kind:     hidden_remainder_y
      - .offset:         134
        .size:           2
        .value_kind:     hidden_remainder_z
      - .offset:         152
        .size:           8
        .value_kind:     hidden_global_offset_x
      - .offset:         160
        .size:           8
        .value_kind:     hidden_global_offset_y
      - .offset:         168
        .size:           8
        .value_kind:     hidden_global_offset_z
      - .offset:         176
        .size:           2
        .value_kind:     hidden_grid_dims
    .group_segment_fixed_size: 0
    .kernarg_segment_align: 8
    .kernarg_segment_size: 368
    .language:       OpenCL C
    .language_version:
      - 2
      - 0
    .max_flat_workgroup_size: 256
    .name:           _ZL19rocblas_dgmm_kernelILi16ELi16ELb1EPKdPdEviiT2_lllS3_lllT3_llli
    .private_segment_fixed_size: 0
    .sgpr_count:     38
    .sgpr_spill_count: 0
    .symbol:         _ZL19rocblas_dgmm_kernelILi16ELi16ELb1EPKdPdEviiT2_lllS3_lllT3_llli.kd
    .uniform_work_group_size: 1
    .uses_dynamic_stack: false
    .vgpr_count:     14
    .vgpr_spill_count: 0
    .wavefront_size: 64
  - .agpr_count:     0
    .args:
      - .offset:         0
        .size:           4
        .value_kind:     by_value
      - .offset:         4
        .size:           4
        .value_kind:     by_value
      - .address_space:  global
        .offset:         8
        .size:           8
        .value_kind:     global_buffer
      - .offset:         16
        .size:           8
        .value_kind:     by_value
      - .offset:         24
        .size:           8
        .value_kind:     by_value
      - .offset:         32
        .size:           8
        .value_kind:     by_value
      - .address_space:  global
        .offset:         40
        .size:           8
        .value_kind:     global_buffer
      - .offset:         48
        .size:           8
        .value_kind:     by_value
      - .offset:         56
        .size:           8
        .value_kind:     by_value
      - .offset:         64
        .size:           8
        .value_kind:     by_value
      - .address_space:  global
        .offset:         72
        .size:           8
        .value_kind:     global_buffer
      - .offset:         80
        .size:           8
        .value_kind:     by_value
      - .offset:         88
        .size:           8
        .value_kind:     by_value
      - .offset:         96
        .size:           8
        .value_kind:     by_value
    .group_segment_fixed_size: 0
    .kernarg_segment_align: 8
    .kernarg_segment_size: 104
    .language:       OpenCL C
    .language_version:
      - 2
      - 0
    .max_flat_workgroup_size: 1024
    .name:           _ZL26rocblas_dgmm_gfx942_kernelILi32ELi32ELb0EPK19rocblas_complex_numIfEPS1_EviiT2_lllS5_lllT3_lll
    .private_segment_fixed_size: 0
    .sgpr_count:     6
    .sgpr_spill_count: 0
    .symbol:         _ZL26rocblas_dgmm_gfx942_kernelILi32ELi32ELb0EPK19rocblas_complex_numIfEPS1_EviiT2_lllS5_lllT3_lll.kd
    .uniform_work_group_size: 1
    .uses_dynamic_stack: false
    .vgpr_count:     0
    .vgpr_spill_count: 0
    .wavefront_size: 64
  - .agpr_count:     0
    .args:
      - .offset:         0
        .size:           4
        .value_kind:     by_value
      - .offset:         4
        .size:           4
        .value_kind:     by_value
      - .address_space:  global
        .offset:         8
        .size:           8
        .value_kind:     global_buffer
      - .offset:         16
        .size:           8
        .value_kind:     by_value
      - .offset:         24
        .size:           8
        .value_kind:     by_value
      - .offset:         32
        .size:           8
        .value_kind:     by_value
      - .address_space:  global
        .offset:         40
        .size:           8
        .value_kind:     global_buffer
      - .offset:         48
        .size:           8
        .value_kind:     by_value
      - .offset:         56
        .size:           8
        .value_kind:     by_value
      - .offset:         64
        .size:           8
        .value_kind:     by_value
      - .address_space:  global
        .offset:         72
        .size:           8
        .value_kind:     global_buffer
      - .offset:         80
        .size:           8
        .value_kind:     by_value
      - .offset:         88
        .size:           8
        .value_kind:     by_value
      - .offset:         96
        .size:           8
        .value_kind:     by_value
      - .offset:         104
        .size:           4
        .value_kind:     by_value
      - .offset:         112
        .size:           4
        .value_kind:     hidden_block_count_x
      - .offset:         116
        .size:           4
        .value_kind:     hidden_block_count_y
      - .offset:         120
        .size:           4
        .value_kind:     hidden_block_count_z
      - .offset:         124
        .size:           2
        .value_kind:     hidden_group_size_x
      - .offset:         126
        .size:           2
        .value_kind:     hidden_group_size_y
      - .offset:         128
        .size:           2
        .value_kind:     hidden_group_size_z
      - .offset:         130
        .size:           2
        .value_kind:     hidden_remainder_x
      - .offset:         132
        .size:           2
        .value_kind:     hidden_remainder_y
      - .offset:         134
        .size:           2
        .value_kind:     hidden_remainder_z
      - .offset:         152
        .size:           8
        .value_kind:     hidden_global_offset_x
      - .offset:         160
        .size:           8
        .value_kind:     hidden_global_offset_y
      - .offset:         168
        .size:           8
        .value_kind:     hidden_global_offset_z
      - .offset:         176
        .size:           2
        .value_kind:     hidden_grid_dims
    .group_segment_fixed_size: 0
    .kernarg_segment_align: 8
    .kernarg_segment_size: 368
    .language:       OpenCL C
    .language_version:
      - 2
      - 0
    .max_flat_workgroup_size: 256
    .name:           _ZL19rocblas_dgmm_kernelILi16ELi16ELb0EPK19rocblas_complex_numIfEPS1_EviiT2_lllS5_lllT3_llli
    .private_segment_fixed_size: 0
    .sgpr_count:     38
    .sgpr_spill_count: 0
    .symbol:         _ZL19rocblas_dgmm_kernelILi16ELi16ELb0EPK19rocblas_complex_numIfEPS1_EviiT2_lllS5_lllT3_llli.kd
    .uniform_work_group_size: 1
    .uses_dynamic_stack: false
    .vgpr_count:     18
    .vgpr_spill_count: 0
    .wavefront_size: 64
  - .agpr_count:     0
    .args:
      - .offset:         0
        .size:           4
        .value_kind:     by_value
      - .offset:         4
        .size:           4
        .value_kind:     by_value
      - .address_space:  global
        .offset:         8
        .size:           8
        .value_kind:     global_buffer
      - .offset:         16
        .size:           8
        .value_kind:     by_value
      - .offset:         24
        .size:           8
        .value_kind:     by_value
      - .offset:         32
        .size:           8
        .value_kind:     by_value
      - .address_space:  global
        .offset:         40
        .size:           8
        .value_kind:     global_buffer
      - .offset:         48
        .size:           8
        .value_kind:     by_value
      - .offset:         56
        .size:           8
        .value_kind:     by_value
      - .offset:         64
        .size:           8
        .value_kind:     by_value
      - .address_space:  global
        .offset:         72
        .size:           8
        .value_kind:     global_buffer
      - .offset:         80
        .size:           8
        .value_kind:     by_value
      - .offset:         88
        .size:           8
        .value_kind:     by_value
      - .offset:         96
        .size:           8
        .value_kind:     by_value
    .group_segment_fixed_size: 0
    .kernarg_segment_align: 8
    .kernarg_segment_size: 104
    .language:       OpenCL C
    .language_version:
      - 2
      - 0
    .max_flat_workgroup_size: 1024
    .name:           _ZL26rocblas_dgmm_gfx942_kernelILi32ELi32ELb1EPK19rocblas_complex_numIfEPS1_EviiT2_lllS5_lllT3_lll
    .private_segment_fixed_size: 0
    .sgpr_count:     6
    .sgpr_spill_count: 0
    .symbol:         _ZL26rocblas_dgmm_gfx942_kernelILi32ELi32ELb1EPK19rocblas_complex_numIfEPS1_EviiT2_lllS5_lllT3_lll.kd
    .uniform_work_group_size: 1
    .uses_dynamic_stack: false
    .vgpr_count:     0
    .vgpr_spill_count: 0
    .wavefront_size: 64
  - .agpr_count:     0
    .args:
      - .offset:         0
        .size:           4
        .value_kind:     by_value
      - .offset:         4
        .size:           4
        .value_kind:     by_value
      - .address_space:  global
        .offset:         8
        .size:           8
        .value_kind:     global_buffer
      - .offset:         16
        .size:           8
        .value_kind:     by_value
      - .offset:         24
        .size:           8
        .value_kind:     by_value
      - .offset:         32
        .size:           8
        .value_kind:     by_value
      - .address_space:  global
        .offset:         40
        .size:           8
        .value_kind:     global_buffer
      - .offset:         48
        .size:           8
        .value_kind:     by_value
      - .offset:         56
        .size:           8
        .value_kind:     by_value
      - .offset:         64
        .size:           8
        .value_kind:     by_value
      - .address_space:  global
        .offset:         72
        .size:           8
        .value_kind:     global_buffer
      - .offset:         80
        .size:           8
        .value_kind:     by_value
      - .offset:         88
        .size:           8
        .value_kind:     by_value
      - .offset:         96
        .size:           8
        .value_kind:     by_value
      - .offset:         104
        .size:           4
        .value_kind:     by_value
      - .offset:         112
        .size:           4
        .value_kind:     hidden_block_count_x
      - .offset:         116
        .size:           4
        .value_kind:     hidden_block_count_y
      - .offset:         120
        .size:           4
        .value_kind:     hidden_block_count_z
      - .offset:         124
        .size:           2
        .value_kind:     hidden_group_size_x
      - .offset:         126
        .size:           2
        .value_kind:     hidden_group_size_y
      - .offset:         128
        .size:           2
        .value_kind:     hidden_group_size_z
      - .offset:         130
        .size:           2
        .value_kind:     hidden_remainder_x
      - .offset:         132
        .size:           2
        .value_kind:     hidden_remainder_y
      - .offset:         134
        .size:           2
        .value_kind:     hidden_remainder_z
      - .offset:         152
        .size:           8
        .value_kind:     hidden_global_offset_x
      - .offset:         160
        .size:           8
        .value_kind:     hidden_global_offset_y
      - .offset:         168
        .size:           8
        .value_kind:     hidden_global_offset_z
      - .offset:         176
        .size:           2
        .value_kind:     hidden_grid_dims
    .group_segment_fixed_size: 0
    .kernarg_segment_align: 8
    .kernarg_segment_size: 368
    .language:       OpenCL C
    .language_version:
      - 2
      - 0
    .max_flat_workgroup_size: 256
    .name:           _ZL19rocblas_dgmm_kernelILi16ELi16ELb1EPK19rocblas_complex_numIfEPS1_EviiT2_lllS5_lllT3_llli
    .private_segment_fixed_size: 0
    .sgpr_count:     38
    .sgpr_spill_count: 0
    .symbol:         _ZL19rocblas_dgmm_kernelILi16ELi16ELb1EPK19rocblas_complex_numIfEPS1_EviiT2_lllS5_lllT3_llli.kd
    .uniform_work_group_size: 1
    .uses_dynamic_stack: false
    .vgpr_count:     16
    .vgpr_spill_count: 0
    .wavefront_size: 64
  - .agpr_count:     0
    .args:
      - .offset:         0
        .size:           4
        .value_kind:     by_value
      - .offset:         4
        .size:           4
        .value_kind:     by_value
      - .address_space:  global
        .offset:         8
        .size:           8
        .value_kind:     global_buffer
      - .offset:         16
        .size:           8
        .value_kind:     by_value
      - .offset:         24
        .size:           8
        .value_kind:     by_value
      - .offset:         32
        .size:           8
        .value_kind:     by_value
      - .address_space:  global
        .offset:         40
        .size:           8
        .value_kind:     global_buffer
      - .offset:         48
        .size:           8
        .value_kind:     by_value
      - .offset:         56
        .size:           8
        .value_kind:     by_value
      - .offset:         64
        .size:           8
        .value_kind:     by_value
      - .address_space:  global
        .offset:         72
        .size:           8
        .value_kind:     global_buffer
      - .offset:         80
        .size:           8
        .value_kind:     by_value
      - .offset:         88
        .size:           8
        .value_kind:     by_value
      - .offset:         96
        .size:           8
        .value_kind:     by_value
    .group_segment_fixed_size: 0
    .kernarg_segment_align: 8
    .kernarg_segment_size: 104
    .language:       OpenCL C
    .language_version:
      - 2
      - 0
    .max_flat_workgroup_size: 1024
    .name:           _ZL26rocblas_dgmm_gfx942_kernelILi32ELi32ELb0EPK19rocblas_complex_numIdEPS1_EviiT2_lllS5_lllT3_lll
    .private_segment_fixed_size: 0
    .sgpr_count:     6
    .sgpr_spill_count: 0
    .symbol:         _ZL26rocblas_dgmm_gfx942_kernelILi32ELi32ELb0EPK19rocblas_complex_numIdEPS1_EviiT2_lllS5_lllT3_lll.kd
    .uniform_work_group_size: 1
    .uses_dynamic_stack: false
    .vgpr_count:     0
    .vgpr_spill_count: 0
    .wavefront_size: 64
  - .agpr_count:     0
    .args:
      - .offset:         0
        .size:           4
        .value_kind:     by_value
      - .offset:         4
        .size:           4
        .value_kind:     by_value
      - .address_space:  global
        .offset:         8
        .size:           8
        .value_kind:     global_buffer
      - .offset:         16
        .size:           8
        .value_kind:     by_value
      - .offset:         24
        .size:           8
        .value_kind:     by_value
      - .offset:         32
        .size:           8
        .value_kind:     by_value
      - .address_space:  global
        .offset:         40
        .size:           8
        .value_kind:     global_buffer
      - .offset:         48
        .size:           8
        .value_kind:     by_value
      - .offset:         56
        .size:           8
        .value_kind:     by_value
      - .offset:         64
        .size:           8
        .value_kind:     by_value
      - .address_space:  global
        .offset:         72
        .size:           8
        .value_kind:     global_buffer
      - .offset:         80
        .size:           8
        .value_kind:     by_value
      - .offset:         88
        .size:           8
        .value_kind:     by_value
      - .offset:         96
        .size:           8
        .value_kind:     by_value
      - .offset:         104
        .size:           4
        .value_kind:     by_value
      - .offset:         112
        .size:           4
        .value_kind:     hidden_block_count_x
      - .offset:         116
        .size:           4
        .value_kind:     hidden_block_count_y
      - .offset:         120
        .size:           4
        .value_kind:     hidden_block_count_z
      - .offset:         124
        .size:           2
        .value_kind:     hidden_group_size_x
      - .offset:         126
        .size:           2
        .value_kind:     hidden_group_size_y
      - .offset:         128
        .size:           2
        .value_kind:     hidden_group_size_z
      - .offset:         130
        .size:           2
        .value_kind:     hidden_remainder_x
      - .offset:         132
        .size:           2
        .value_kind:     hidden_remainder_y
      - .offset:         134
        .size:           2
        .value_kind:     hidden_remainder_z
      - .offset:         152
        .size:           8
        .value_kind:     hidden_global_offset_x
      - .offset:         160
        .size:           8
        .value_kind:     hidden_global_offset_y
      - .offset:         168
        .size:           8
        .value_kind:     hidden_global_offset_z
      - .offset:         176
        .size:           2
        .value_kind:     hidden_grid_dims
    .group_segment_fixed_size: 0
    .kernarg_segment_align: 8
    .kernarg_segment_size: 368
    .language:       OpenCL C
    .language_version:
      - 2
      - 0
    .max_flat_workgroup_size: 256
    .name:           _ZL19rocblas_dgmm_kernelILi16ELi16ELb0EPK19rocblas_complex_numIdEPS1_EviiT2_lllS5_lllT3_llli
    .private_segment_fixed_size: 0
    .sgpr_count:     38
    .sgpr_spill_count: 0
    .symbol:         _ZL19rocblas_dgmm_kernelILi16ELi16ELb0EPK19rocblas_complex_numIdEPS1_EviiT2_lllS5_lllT3_llli.kd
    .uniform_work_group_size: 1
    .uses_dynamic_stack: false
    .vgpr_count:     22
    .vgpr_spill_count: 0
    .wavefront_size: 64
  - .agpr_count:     0
    .args:
      - .offset:         0
        .size:           4
        .value_kind:     by_value
      - .offset:         4
        .size:           4
        .value_kind:     by_value
      - .address_space:  global
        .offset:         8
        .size:           8
        .value_kind:     global_buffer
      - .offset:         16
        .size:           8
        .value_kind:     by_value
      - .offset:         24
        .size:           8
        .value_kind:     by_value
      - .offset:         32
        .size:           8
        .value_kind:     by_value
      - .address_space:  global
        .offset:         40
        .size:           8
        .value_kind:     global_buffer
      - .offset:         48
        .size:           8
        .value_kind:     by_value
      - .offset:         56
        .size:           8
        .value_kind:     by_value
      - .offset:         64
        .size:           8
        .value_kind:     by_value
      - .address_space:  global
        .offset:         72
        .size:           8
        .value_kind:     global_buffer
      - .offset:         80
        .size:           8
        .value_kind:     by_value
      - .offset:         88
        .size:           8
        .value_kind:     by_value
      - .offset:         96
        .size:           8
        .value_kind:     by_value
    .group_segment_fixed_size: 0
    .kernarg_segment_align: 8
    .kernarg_segment_size: 104
    .language:       OpenCL C
    .language_version:
      - 2
      - 0
    .max_flat_workgroup_size: 1024
    .name:           _ZL26rocblas_dgmm_gfx942_kernelILi32ELi32ELb1EPK19rocblas_complex_numIdEPS1_EviiT2_lllS5_lllT3_lll
    .private_segment_fixed_size: 0
    .sgpr_count:     6
    .sgpr_spill_count: 0
    .symbol:         _ZL26rocblas_dgmm_gfx942_kernelILi32ELi32ELb1EPK19rocblas_complex_numIdEPS1_EviiT2_lllS5_lllT3_lll.kd
    .uniform_work_group_size: 1
    .uses_dynamic_stack: false
    .vgpr_count:     0
    .vgpr_spill_count: 0
    .wavefront_size: 64
  - .agpr_count:     0
    .args:
      - .offset:         0
        .size:           4
        .value_kind:     by_value
      - .offset:         4
        .size:           4
        .value_kind:     by_value
      - .address_space:  global
        .offset:         8
        .size:           8
        .value_kind:     global_buffer
      - .offset:         16
        .size:           8
        .value_kind:     by_value
      - .offset:         24
        .size:           8
        .value_kind:     by_value
      - .offset:         32
        .size:           8
        .value_kind:     by_value
      - .address_space:  global
        .offset:         40
        .size:           8
        .value_kind:     global_buffer
      - .offset:         48
        .size:           8
        .value_kind:     by_value
      - .offset:         56
        .size:           8
        .value_kind:     by_value
      - .offset:         64
        .size:           8
        .value_kind:     by_value
      - .address_space:  global
        .offset:         72
        .size:           8
        .value_kind:     global_buffer
      - .offset:         80
        .size:           8
        .value_kind:     by_value
      - .offset:         88
        .size:           8
        .value_kind:     by_value
      - .offset:         96
        .size:           8
        .value_kind:     by_value
      - .offset:         104
        .size:           4
        .value_kind:     by_value
      - .offset:         112
        .size:           4
        .value_kind:     hidden_block_count_x
      - .offset:         116
        .size:           4
        .value_kind:     hidden_block_count_y
      - .offset:         120
        .size:           4
        .value_kind:     hidden_block_count_z
      - .offset:         124
        .size:           2
        .value_kind:     hidden_group_size_x
      - .offset:         126
        .size:           2
        .value_kind:     hidden_group_size_y
      - .offset:         128
        .size:           2
        .value_kind:     hidden_group_size_z
      - .offset:         130
        .size:           2
        .value_kind:     hidden_remainder_x
      - .offset:         132
        .size:           2
        .value_kind:     hidden_remainder_y
      - .offset:         134
        .size:           2
        .value_kind:     hidden_remainder_z
      - .offset:         152
        .size:           8
        .value_kind:     hidden_global_offset_x
      - .offset:         160
        .size:           8
        .value_kind:     hidden_global_offset_y
      - .offset:         168
        .size:           8
        .value_kind:     hidden_global_offset_z
      - .offset:         176
        .size:           2
        .value_kind:     hidden_grid_dims
    .group_segment_fixed_size: 0
    .kernarg_segment_align: 8
    .kernarg_segment_size: 368
    .language:       OpenCL C
    .language_version:
      - 2
      - 0
    .max_flat_workgroup_size: 256
    .name:           _ZL19rocblas_dgmm_kernelILi16ELi16ELb1EPK19rocblas_complex_numIdEPS1_EviiT2_lllS5_lllT3_llli
    .private_segment_fixed_size: 0
    .sgpr_count:     38
    .sgpr_spill_count: 0
    .symbol:         _ZL19rocblas_dgmm_kernelILi16ELi16ELb1EPK19rocblas_complex_numIdEPS1_EviiT2_lllS5_lllT3_llli.kd
    .uniform_work_group_size: 1
    .uses_dynamic_stack: false
    .vgpr_count:     20
    .vgpr_spill_count: 0
    .wavefront_size: 64
  - .agpr_count:     0
    .args:
      - .offset:         0
        .size:           4
        .value_kind:     by_value
      - .offset:         4
        .size:           4
        .value_kind:     by_value
      - .address_space:  global
        .offset:         8
        .size:           8
        .value_kind:     global_buffer
      - .offset:         16
        .size:           8
        .value_kind:     by_value
      - .offset:         24
        .size:           8
        .value_kind:     by_value
      - .offset:         32
        .size:           8
        .value_kind:     by_value
      - .address_space:  global
        .offset:         40
        .size:           8
        .value_kind:     global_buffer
      - .offset:         48
        .size:           8
        .value_kind:     by_value
      - .offset:         56
        .size:           8
        .value_kind:     by_value
      - .offset:         64
        .size:           8
        .value_kind:     by_value
      - .address_space:  global
        .offset:         72
        .size:           8
        .value_kind:     global_buffer
      - .offset:         80
        .size:           8
        .value_kind:     by_value
      - .offset:         88
        .size:           8
        .value_kind:     by_value
      - .offset:         96
        .size:           8
        .value_kind:     by_value
    .group_segment_fixed_size: 0
    .kernarg_segment_align: 8
    .kernarg_segment_size: 104
    .language:       OpenCL C
    .language_version:
      - 2
      - 0
    .max_flat_workgroup_size: 1024
    .name:           _ZL26rocblas_dgmm_gfx942_kernelILi32ELi32ELb0EPKPKfPKPfEviiT2_lllS7_lllT3_lll
    .private_segment_fixed_size: 0
    .sgpr_count:     6
    .sgpr_spill_count: 0
    .symbol:         _ZL26rocblas_dgmm_gfx942_kernelILi32ELi32ELb0EPKPKfPKPfEviiT2_lllS7_lllT3_lll.kd
    .uniform_work_group_size: 1
    .uses_dynamic_stack: false
    .vgpr_count:     0
    .vgpr_spill_count: 0
    .wavefront_size: 64
  - .agpr_count:     0
    .args:
      - .offset:         0
        .size:           4
        .value_kind:     by_value
      - .offset:         4
        .size:           4
        .value_kind:     by_value
      - .address_space:  global
        .offset:         8
        .size:           8
        .value_kind:     global_buffer
      - .offset:         16
        .size:           8
        .value_kind:     by_value
      - .offset:         24
        .size:           8
        .value_kind:     by_value
      - .offset:         32
        .size:           8
        .value_kind:     by_value
      - .address_space:  global
        .offset:         40
        .size:           8
        .value_kind:     global_buffer
      - .offset:         48
        .size:           8
        .value_kind:     by_value
      - .offset:         56
        .size:           8
        .value_kind:     by_value
      - .offset:         64
        .size:           8
        .value_kind:     by_value
      - .address_space:  global
        .offset:         72
        .size:           8
        .value_kind:     global_buffer
      - .offset:         80
        .size:           8
        .value_kind:     by_value
      - .offset:         88
        .size:           8
        .value_kind:     by_value
      - .offset:         96
        .size:           8
        .value_kind:     by_value
      - .offset:         104
        .size:           4
        .value_kind:     by_value
      - .offset:         112
        .size:           4
        .value_kind:     hidden_block_count_x
      - .offset:         116
        .size:           4
        .value_kind:     hidden_block_count_y
      - .offset:         120
        .size:           4
        .value_kind:     hidden_block_count_z
      - .offset:         124
        .size:           2
        .value_kind:     hidden_group_size_x
      - .offset:         126
        .size:           2
        .value_kind:     hidden_group_size_y
      - .offset:         128
        .size:           2
        .value_kind:     hidden_group_size_z
      - .offset:         130
        .size:           2
        .value_kind:     hidden_remainder_x
      - .offset:         132
        .size:           2
        .value_kind:     hidden_remainder_y
      - .offset:         134
        .size:           2
        .value_kind:     hidden_remainder_z
      - .offset:         152
        .size:           8
        .value_kind:     hidden_global_offset_x
      - .offset:         160
        .size:           8
        .value_kind:     hidden_global_offset_y
      - .offset:         168
        .size:           8
        .value_kind:     hidden_global_offset_z
      - .offset:         176
        .size:           2
        .value_kind:     hidden_grid_dims
    .group_segment_fixed_size: 0
    .kernarg_segment_align: 8
    .kernarg_segment_size: 368
    .language:       OpenCL C
    .language_version:
      - 2
      - 0
    .max_flat_workgroup_size: 256
    .name:           _ZL19rocblas_dgmm_kernelILi16ELi16ELb0EPKPKfPKPfEviiT2_lllS7_lllT3_llli
    .private_segment_fixed_size: 0
    .sgpr_count:     32
    .sgpr_spill_count: 0
    .symbol:         _ZL19rocblas_dgmm_kernelILi16ELi16ELb0EPKPKfPKPfEviiT2_lllS7_lllT3_llli.kd
    .uniform_work_group_size: 1
    .uses_dynamic_stack: false
    .vgpr_count:     13
    .vgpr_spill_count: 0
    .wavefront_size: 64
  - .agpr_count:     0
    .args:
      - .offset:         0
        .size:           4
        .value_kind:     by_value
      - .offset:         4
        .size:           4
        .value_kind:     by_value
      - .address_space:  global
        .offset:         8
        .size:           8
        .value_kind:     global_buffer
      - .offset:         16
        .size:           8
        .value_kind:     by_value
      - .offset:         24
        .size:           8
        .value_kind:     by_value
      - .offset:         32
        .size:           8
        .value_kind:     by_value
      - .address_space:  global
        .offset:         40
        .size:           8
        .value_kind:     global_buffer
      - .offset:         48
        .size:           8
        .value_kind:     by_value
      - .offset:         56
        .size:           8
        .value_kind:     by_value
      - .offset:         64
        .size:           8
        .value_kind:     by_value
      - .address_space:  global
        .offset:         72
        .size:           8
        .value_kind:     global_buffer
      - .offset:         80
        .size:           8
        .value_kind:     by_value
      - .offset:         88
        .size:           8
        .value_kind:     by_value
      - .offset:         96
        .size:           8
        .value_kind:     by_value
    .group_segment_fixed_size: 0
    .kernarg_segment_align: 8
    .kernarg_segment_size: 104
    .language:       OpenCL C
    .language_version:
      - 2
      - 0
    .max_flat_workgroup_size: 1024
    .name:           _ZL26rocblas_dgmm_gfx942_kernelILi32ELi32ELb1EPKPKfPKPfEviiT2_lllS7_lllT3_lll
    .private_segment_fixed_size: 0
    .sgpr_count:     6
    .sgpr_spill_count: 0
    .symbol:         _ZL26rocblas_dgmm_gfx942_kernelILi32ELi32ELb1EPKPKfPKPfEviiT2_lllS7_lllT3_lll.kd
    .uniform_work_group_size: 1
    .uses_dynamic_stack: false
    .vgpr_count:     0
    .vgpr_spill_count: 0
    .wavefront_size: 64
  - .agpr_count:     0
    .args:
      - .offset:         0
        .size:           4
        .value_kind:     by_value
      - .offset:         4
        .size:           4
        .value_kind:     by_value
      - .address_space:  global
        .offset:         8
        .size:           8
        .value_kind:     global_buffer
      - .offset:         16
        .size:           8
        .value_kind:     by_value
      - .offset:         24
        .size:           8
        .value_kind:     by_value
      - .offset:         32
        .size:           8
        .value_kind:     by_value
      - .address_space:  global
        .offset:         40
        .size:           8
        .value_kind:     global_buffer
      - .offset:         48
        .size:           8
        .value_kind:     by_value
      - .offset:         56
        .size:           8
        .value_kind:     by_value
      - .offset:         64
        .size:           8
        .value_kind:     by_value
      - .address_space:  global
        .offset:         72
        .size:           8
        .value_kind:     global_buffer
      - .offset:         80
        .size:           8
        .value_kind:     by_value
      - .offset:         88
        .size:           8
        .value_kind:     by_value
      - .offset:         96
        .size:           8
        .value_kind:     by_value
      - .offset:         104
        .size:           4
        .value_kind:     by_value
      - .offset:         112
        .size:           4
        .value_kind:     hidden_block_count_x
      - .offset:         116
        .size:           4
        .value_kind:     hidden_block_count_y
      - .offset:         120
        .size:           4
        .value_kind:     hidden_block_count_z
      - .offset:         124
        .size:           2
        .value_kind:     hidden_group_size_x
      - .offset:         126
        .size:           2
        .value_kind:     hidden_group_size_y
      - .offset:         128
        .size:           2
        .value_kind:     hidden_group_size_z
      - .offset:         130
        .size:           2
        .value_kind:     hidden_remainder_x
      - .offset:         132
        .size:           2
        .value_kind:     hidden_remainder_y
      - .offset:         134
        .size:           2
        .value_kind:     hidden_remainder_z
      - .offset:         152
        .size:           8
        .value_kind:     hidden_global_offset_x
      - .offset:         160
        .size:           8
        .value_kind:     hidden_global_offset_y
      - .offset:         168
        .size:           8
        .value_kind:     hidden_global_offset_z
      - .offset:         176
        .size:           2
        .value_kind:     hidden_grid_dims
    .group_segment_fixed_size: 0
    .kernarg_segment_align: 8
    .kernarg_segment_size: 368
    .language:       OpenCL C
    .language_version:
      - 2
      - 0
    .max_flat_workgroup_size: 256
    .name:           _ZL19rocblas_dgmm_kernelILi16ELi16ELb1EPKPKfPKPfEviiT2_lllS7_lllT3_llli
    .private_segment_fixed_size: 0
    .sgpr_count:     30
    .sgpr_spill_count: 0
    .symbol:         _ZL19rocblas_dgmm_kernelILi16ELi16ELb1EPKPKfPKPfEviiT2_lllS7_lllT3_llli.kd
    .uniform_work_group_size: 1
    .uses_dynamic_stack: false
    .vgpr_count:     14
    .vgpr_spill_count: 0
    .wavefront_size: 64
  - .agpr_count:     0
    .args:
      - .offset:         0
        .size:           4
        .value_kind:     by_value
      - .offset:         4
        .size:           4
        .value_kind:     by_value
      - .address_space:  global
        .offset:         8
        .size:           8
        .value_kind:     global_buffer
      - .offset:         16
        .size:           8
        .value_kind:     by_value
      - .offset:         24
        .size:           8
        .value_kind:     by_value
      - .offset:         32
        .size:           8
        .value_kind:     by_value
      - .address_space:  global
        .offset:         40
        .size:           8
        .value_kind:     global_buffer
      - .offset:         48
        .size:           8
        .value_kind:     by_value
      - .offset:         56
        .size:           8
        .value_kind:     by_value
      - .offset:         64
        .size:           8
        .value_kind:     by_value
      - .address_space:  global
        .offset:         72
        .size:           8
        .value_kind:     global_buffer
      - .offset:         80
        .size:           8
        .value_kind:     by_value
      - .offset:         88
        .size:           8
        .value_kind:     by_value
      - .offset:         96
        .size:           8
        .value_kind:     by_value
    .group_segment_fixed_size: 0
    .kernarg_segment_align: 8
    .kernarg_segment_size: 104
    .language:       OpenCL C
    .language_version:
      - 2
      - 0
    .max_flat_workgroup_size: 1024
    .name:           _ZL26rocblas_dgmm_gfx942_kernelILi32ELi32ELb0EPKPKdPKPdEviiT2_lllS7_lllT3_lll
    .private_segment_fixed_size: 0
    .sgpr_count:     6
    .sgpr_spill_count: 0
    .symbol:         _ZL26rocblas_dgmm_gfx942_kernelILi32ELi32ELb0EPKPKdPKPdEviiT2_lllS7_lllT3_lll.kd
    .uniform_work_group_size: 1
    .uses_dynamic_stack: false
    .vgpr_count:     0
    .vgpr_spill_count: 0
    .wavefront_size: 64
  - .agpr_count:     0
    .args:
      - .offset:         0
        .size:           4
        .value_kind:     by_value
      - .offset:         4
        .size:           4
        .value_kind:     by_value
      - .address_space:  global
        .offset:         8
        .size:           8
        .value_kind:     global_buffer
      - .offset:         16
        .size:           8
        .value_kind:     by_value
      - .offset:         24
        .size:           8
        .value_kind:     by_value
      - .offset:         32
        .size:           8
        .value_kind:     by_value
      - .address_space:  global
        .offset:         40
        .size:           8
        .value_kind:     global_buffer
      - .offset:         48
        .size:           8
        .value_kind:     by_value
      - .offset:         56
        .size:           8
        .value_kind:     by_value
      - .offset:         64
        .size:           8
        .value_kind:     by_value
      - .address_space:  global
        .offset:         72
        .size:           8
        .value_kind:     global_buffer
      - .offset:         80
        .size:           8
        .value_kind:     by_value
      - .offset:         88
        .size:           8
        .value_kind:     by_value
      - .offset:         96
        .size:           8
        .value_kind:     by_value
      - .offset:         104
        .size:           4
        .value_kind:     by_value
      - .offset:         112
        .size:           4
        .value_kind:     hidden_block_count_x
      - .offset:         116
        .size:           4
        .value_kind:     hidden_block_count_y
      - .offset:         120
        .size:           4
        .value_kind:     hidden_block_count_z
      - .offset:         124
        .size:           2
        .value_kind:     hidden_group_size_x
      - .offset:         126
        .size:           2
        .value_kind:     hidden_group_size_y
      - .offset:         128
        .size:           2
        .value_kind:     hidden_group_size_z
      - .offset:         130
        .size:           2
        .value_kind:     hidden_remainder_x
      - .offset:         132
        .size:           2
        .value_kind:     hidden_remainder_y
      - .offset:         134
        .size:           2
        .value_kind:     hidden_remainder_z
      - .offset:         152
        .size:           8
        .value_kind:     hidden_global_offset_x
      - .offset:         160
        .size:           8
        .value_kind:     hidden_global_offset_y
      - .offset:         168
        .size:           8
        .value_kind:     hidden_global_offset_z
      - .offset:         176
        .size:           2
        .value_kind:     hidden_grid_dims
    .group_segment_fixed_size: 0
    .kernarg_segment_align: 8
    .kernarg_segment_size: 368
    .language:       OpenCL C
    .language_version:
      - 2
      - 0
    .max_flat_workgroup_size: 256
    .name:           _ZL19rocblas_dgmm_kernelILi16ELi16ELb0EPKPKdPKPdEviiT2_lllS7_lllT3_llli
    .private_segment_fixed_size: 0
    .sgpr_count:     32
    .sgpr_spill_count: 0
    .symbol:         _ZL19rocblas_dgmm_kernelILi16ELi16ELb0EPKPKdPKPdEviiT2_lllS7_lllT3_llli.kd
    .uniform_work_group_size: 1
    .uses_dynamic_stack: false
    .vgpr_count:     15
    .vgpr_spill_count: 0
    .wavefront_size: 64
  - .agpr_count:     0
    .args:
      - .offset:         0
        .size:           4
        .value_kind:     by_value
      - .offset:         4
        .size:           4
        .value_kind:     by_value
      - .address_space:  global
        .offset:         8
        .size:           8
        .value_kind:     global_buffer
      - .offset:         16
        .size:           8
        .value_kind:     by_value
      - .offset:         24
        .size:           8
        .value_kind:     by_value
      - .offset:         32
        .size:           8
        .value_kind:     by_value
      - .address_space:  global
        .offset:         40
        .size:           8
        .value_kind:     global_buffer
      - .offset:         48
        .size:           8
        .value_kind:     by_value
      - .offset:         56
        .size:           8
        .value_kind:     by_value
      - .offset:         64
        .size:           8
        .value_kind:     by_value
      - .address_space:  global
        .offset:         72
        .size:           8
        .value_kind:     global_buffer
      - .offset:         80
        .size:           8
        .value_kind:     by_value
      - .offset:         88
        .size:           8
        .value_kind:     by_value
      - .offset:         96
        .size:           8
        .value_kind:     by_value
    .group_segment_fixed_size: 0
    .kernarg_segment_align: 8
    .kernarg_segment_size: 104
    .language:       OpenCL C
    .language_version:
      - 2
      - 0
    .max_flat_workgroup_size: 1024
    .name:           _ZL26rocblas_dgmm_gfx942_kernelILi32ELi32ELb1EPKPKdPKPdEviiT2_lllS7_lllT3_lll
    .private_segment_fixed_size: 0
    .sgpr_count:     6
    .sgpr_spill_count: 0
    .symbol:         _ZL26rocblas_dgmm_gfx942_kernelILi32ELi32ELb1EPKPKdPKPdEviiT2_lllS7_lllT3_lll.kd
    .uniform_work_group_size: 1
    .uses_dynamic_stack: false
    .vgpr_count:     0
    .vgpr_spill_count: 0
    .wavefront_size: 64
  - .agpr_count:     0
    .args:
      - .offset:         0
        .size:           4
        .value_kind:     by_value
      - .offset:         4
        .size:           4
        .value_kind:     by_value
      - .address_space:  global
        .offset:         8
        .size:           8
        .value_kind:     global_buffer
      - .offset:         16
        .size:           8
        .value_kind:     by_value
      - .offset:         24
        .size:           8
        .value_kind:     by_value
      - .offset:         32
        .size:           8
        .value_kind:     by_value
      - .address_space:  global
        .offset:         40
        .size:           8
        .value_kind:     global_buffer
      - .offset:         48
        .size:           8
        .value_kind:     by_value
      - .offset:         56
        .size:           8
        .value_kind:     by_value
      - .offset:         64
        .size:           8
        .value_kind:     by_value
      - .address_space:  global
        .offset:         72
        .size:           8
        .value_kind:     global_buffer
      - .offset:         80
        .size:           8
        .value_kind:     by_value
      - .offset:         88
        .size:           8
        .value_kind:     by_value
      - .offset:         96
        .size:           8
        .value_kind:     by_value
      - .offset:         104
        .size:           4
        .value_kind:     by_value
      - .offset:         112
        .size:           4
        .value_kind:     hidden_block_count_x
      - .offset:         116
        .size:           4
        .value_kind:     hidden_block_count_y
      - .offset:         120
        .size:           4
        .value_kind:     hidden_block_count_z
      - .offset:         124
        .size:           2
        .value_kind:     hidden_group_size_x
      - .offset:         126
        .size:           2
        .value_kind:     hidden_group_size_y
      - .offset:         128
        .size:           2
        .value_kind:     hidden_group_size_z
      - .offset:         130
        .size:           2
        .value_kind:     hidden_remainder_x
      - .offset:         132
        .size:           2
        .value_kind:     hidden_remainder_y
      - .offset:         134
        .size:           2
        .value_kind:     hidden_remainder_z
      - .offset:         152
        .size:           8
        .value_kind:     hidden_global_offset_x
      - .offset:         160
        .size:           8
        .value_kind:     hidden_global_offset_y
      - .offset:         168
        .size:           8
        .value_kind:     hidden_global_offset_z
      - .offset:         176
        .size:           2
        .value_kind:     hidden_grid_dims
    .group_segment_fixed_size: 0
    .kernarg_segment_align: 8
    .kernarg_segment_size: 368
    .language:       OpenCL C
    .language_version:
      - 2
      - 0
    .max_flat_workgroup_size: 256
    .name:           _ZL19rocblas_dgmm_kernelILi16ELi16ELb1EPKPKdPKPdEviiT2_lllS7_lllT3_llli
    .private_segment_fixed_size: 0
    .sgpr_count:     30
    .sgpr_spill_count: 0
    .symbol:         _ZL19rocblas_dgmm_kernelILi16ELi16ELb1EPKPKdPKPdEviiT2_lllS7_lllT3_llli.kd
    .uniform_work_group_size: 1
    .uses_dynamic_stack: false
    .vgpr_count:     14
    .vgpr_spill_count: 0
    .wavefront_size: 64
  - .agpr_count:     0
    .args:
      - .offset:         0
        .size:           4
        .value_kind:     by_value
      - .offset:         4
        .size:           4
        .value_kind:     by_value
      - .address_space:  global
        .offset:         8
        .size:           8
        .value_kind:     global_buffer
      - .offset:         16
        .size:           8
        .value_kind:     by_value
      - .offset:         24
        .size:           8
        .value_kind:     by_value
      - .offset:         32
        .size:           8
        .value_kind:     by_value
      - .address_space:  global
        .offset:         40
        .size:           8
        .value_kind:     global_buffer
      - .offset:         48
        .size:           8
        .value_kind:     by_value
      - .offset:         56
        .size:           8
        .value_kind:     by_value
      - .offset:         64
        .size:           8
        .value_kind:     by_value
      - .address_space:  global
        .offset:         72
        .size:           8
        .value_kind:     global_buffer
      - .offset:         80
        .size:           8
        .value_kind:     by_value
      - .offset:         88
        .size:           8
        .value_kind:     by_value
      - .offset:         96
        .size:           8
        .value_kind:     by_value
    .group_segment_fixed_size: 0
    .kernarg_segment_align: 8
    .kernarg_segment_size: 104
    .language:       OpenCL C
    .language_version:
      - 2
      - 0
    .max_flat_workgroup_size: 1024
    .name:           _ZL26rocblas_dgmm_gfx942_kernelILi32ELi32ELb0EPKPK19rocblas_complex_numIfEPKPS1_EviiT2_lllS9_lllT3_lll
    .private_segment_fixed_size: 0
    .sgpr_count:     6
    .sgpr_spill_count: 0
    .symbol:         _ZL26rocblas_dgmm_gfx942_kernelILi32ELi32ELb0EPKPK19rocblas_complex_numIfEPKPS1_EviiT2_lllS9_lllT3_lll.kd
    .uniform_work_group_size: 1
    .uses_dynamic_stack: false
    .vgpr_count:     0
    .vgpr_spill_count: 0
    .wavefront_size: 64
  - .agpr_count:     0
    .args:
      - .offset:         0
        .size:           4
        .value_kind:     by_value
      - .offset:         4
        .size:           4
        .value_kind:     by_value
      - .address_space:  global
        .offset:         8
        .size:           8
        .value_kind:     global_buffer
      - .offset:         16
        .size:           8
        .value_kind:     by_value
      - .offset:         24
        .size:           8
        .value_kind:     by_value
      - .offset:         32
        .size:           8
        .value_kind:     by_value
      - .address_space:  global
        .offset:         40
        .size:           8
        .value_kind:     global_buffer
      - .offset:         48
        .size:           8
        .value_kind:     by_value
      - .offset:         56
        .size:           8
        .value_kind:     by_value
      - .offset:         64
        .size:           8
        .value_kind:     by_value
      - .address_space:  global
        .offset:         72
        .size:           8
        .value_kind:     global_buffer
      - .offset:         80
        .size:           8
        .value_kind:     by_value
      - .offset:         88
        .size:           8
        .value_kind:     by_value
      - .offset:         96
        .size:           8
        .value_kind:     by_value
      - .offset:         104
        .size:           4
        .value_kind:     by_value
      - .offset:         112
        .size:           4
        .value_kind:     hidden_block_count_x
      - .offset:         116
        .size:           4
        .value_kind:     hidden_block_count_y
      - .offset:         120
        .size:           4
        .value_kind:     hidden_block_count_z
      - .offset:         124
        .size:           2
        .value_kind:     hidden_group_size_x
      - .offset:         126
        .size:           2
        .value_kind:     hidden_group_size_y
      - .offset:         128
        .size:           2
        .value_kind:     hidden_group_size_z
      - .offset:         130
        .size:           2
        .value_kind:     hidden_remainder_x
      - .offset:         132
        .size:           2
        .value_kind:     hidden_remainder_y
      - .offset:         134
        .size:           2
        .value_kind:     hidden_remainder_z
      - .offset:         152
        .size:           8
        .value_kind:     hidden_global_offset_x
      - .offset:         160
        .size:           8
        .value_kind:     hidden_global_offset_y
      - .offset:         168
        .size:           8
        .value_kind:     hidden_global_offset_z
      - .offset:         176
        .size:           2
        .value_kind:     hidden_grid_dims
    .group_segment_fixed_size: 0
    .kernarg_segment_align: 8
    .kernarg_segment_size: 368
    .language:       OpenCL C
    .language_version:
      - 2
      - 0
    .max_flat_workgroup_size: 256
    .name:           _ZL19rocblas_dgmm_kernelILi16ELi16ELb0EPKPK19rocblas_complex_numIfEPKPS1_EviiT2_lllS9_lllT3_llli
    .private_segment_fixed_size: 0
    .sgpr_count:     32
    .sgpr_spill_count: 0
    .symbol:         _ZL19rocblas_dgmm_kernelILi16ELi16ELb0EPKPK19rocblas_complex_numIfEPKPS1_EviiT2_lllS9_lllT3_llli.kd
    .uniform_work_group_size: 1
    .uses_dynamic_stack: false
    .vgpr_count:     18
    .vgpr_spill_count: 0
    .wavefront_size: 64
  - .agpr_count:     0
    .args:
      - .offset:         0
        .size:           4
        .value_kind:     by_value
      - .offset:         4
        .size:           4
        .value_kind:     by_value
      - .address_space:  global
        .offset:         8
        .size:           8
        .value_kind:     global_buffer
      - .offset:         16
        .size:           8
        .value_kind:     by_value
      - .offset:         24
        .size:           8
        .value_kind:     by_value
      - .offset:         32
        .size:           8
        .value_kind:     by_value
      - .address_space:  global
        .offset:         40
        .size:           8
        .value_kind:     global_buffer
      - .offset:         48
        .size:           8
        .value_kind:     by_value
      - .offset:         56
        .size:           8
        .value_kind:     by_value
      - .offset:         64
        .size:           8
        .value_kind:     by_value
      - .address_space:  global
        .offset:         72
        .size:           8
        .value_kind:     global_buffer
      - .offset:         80
        .size:           8
        .value_kind:     by_value
      - .offset:         88
        .size:           8
        .value_kind:     by_value
      - .offset:         96
        .size:           8
        .value_kind:     by_value
    .group_segment_fixed_size: 0
    .kernarg_segment_align: 8
    .kernarg_segment_size: 104
    .language:       OpenCL C
    .language_version:
      - 2
      - 0
    .max_flat_workgroup_size: 1024
    .name:           _ZL26rocblas_dgmm_gfx942_kernelILi32ELi32ELb1EPKPK19rocblas_complex_numIfEPKPS1_EviiT2_lllS9_lllT3_lll
    .private_segment_fixed_size: 0
    .sgpr_count:     6
    .sgpr_spill_count: 0
    .symbol:         _ZL26rocblas_dgmm_gfx942_kernelILi32ELi32ELb1EPKPK19rocblas_complex_numIfEPKPS1_EviiT2_lllS9_lllT3_lll.kd
    .uniform_work_group_size: 1
    .uses_dynamic_stack: false
    .vgpr_count:     0
    .vgpr_spill_count: 0
    .wavefront_size: 64
  - .agpr_count:     0
    .args:
      - .offset:         0
        .size:           4
        .value_kind:     by_value
      - .offset:         4
        .size:           4
        .value_kind:     by_value
      - .address_space:  global
        .offset:         8
        .size:           8
        .value_kind:     global_buffer
      - .offset:         16
        .size:           8
        .value_kind:     by_value
      - .offset:         24
        .size:           8
        .value_kind:     by_value
      - .offset:         32
        .size:           8
        .value_kind:     by_value
      - .address_space:  global
        .offset:         40
        .size:           8
        .value_kind:     global_buffer
      - .offset:         48
        .size:           8
        .value_kind:     by_value
      - .offset:         56
        .size:           8
        .value_kind:     by_value
      - .offset:         64
        .size:           8
        .value_kind:     by_value
      - .address_space:  global
        .offset:         72
        .size:           8
        .value_kind:     global_buffer
      - .offset:         80
        .size:           8
        .value_kind:     by_value
      - .offset:         88
        .size:           8
        .value_kind:     by_value
      - .offset:         96
        .size:           8
        .value_kind:     by_value
      - .offset:         104
        .size:           4
        .value_kind:     by_value
      - .offset:         112
        .size:           4
        .value_kind:     hidden_block_count_x
      - .offset:         116
        .size:           4
        .value_kind:     hidden_block_count_y
      - .offset:         120
        .size:           4
        .value_kind:     hidden_block_count_z
      - .offset:         124
        .size:           2
        .value_kind:     hidden_group_size_x
      - .offset:         126
        .size:           2
        .value_kind:     hidden_group_size_y
      - .offset:         128
        .size:           2
        .value_kind:     hidden_group_size_z
      - .offset:         130
        .size:           2
        .value_kind:     hidden_remainder_x
      - .offset:         132
        .size:           2
        .value_kind:     hidden_remainder_y
      - .offset:         134
        .size:           2
        .value_kind:     hidden_remainder_z
      - .offset:         152
        .size:           8
        .value_kind:     hidden_global_offset_x
      - .offset:         160
        .size:           8
        .value_kind:     hidden_global_offset_y
      - .offset:         168
        .size:           8
        .value_kind:     hidden_global_offset_z
      - .offset:         176
        .size:           2
        .value_kind:     hidden_grid_dims
    .group_segment_fixed_size: 0
    .kernarg_segment_align: 8
    .kernarg_segment_size: 368
    .language:       OpenCL C
    .language_version:
      - 2
      - 0
    .max_flat_workgroup_size: 256
    .name:           _ZL19rocblas_dgmm_kernelILi16ELi16ELb1EPKPK19rocblas_complex_numIfEPKPS1_EviiT2_lllS9_lllT3_llli
    .private_segment_fixed_size: 0
    .sgpr_count:     30
    .sgpr_spill_count: 0
    .symbol:         _ZL19rocblas_dgmm_kernelILi16ELi16ELb1EPKPK19rocblas_complex_numIfEPKPS1_EviiT2_lllS9_lllT3_llli.kd
    .uniform_work_group_size: 1
    .uses_dynamic_stack: false
    .vgpr_count:     16
    .vgpr_spill_count: 0
    .wavefront_size: 64
  - .agpr_count:     0
    .args:
      - .offset:         0
        .size:           4
        .value_kind:     by_value
      - .offset:         4
        .size:           4
        .value_kind:     by_value
      - .address_space:  global
        .offset:         8
        .size:           8
        .value_kind:     global_buffer
      - .offset:         16
        .size:           8
        .value_kind:     by_value
      - .offset:         24
        .size:           8
        .value_kind:     by_value
      - .offset:         32
        .size:           8
        .value_kind:     by_value
      - .address_space:  global
        .offset:         40
        .size:           8
        .value_kind:     global_buffer
      - .offset:         48
        .size:           8
        .value_kind:     by_value
      - .offset:         56
        .size:           8
        .value_kind:     by_value
      - .offset:         64
        .size:           8
        .value_kind:     by_value
      - .address_space:  global
        .offset:         72
        .size:           8
        .value_kind:     global_buffer
      - .offset:         80
        .size:           8
        .value_kind:     by_value
      - .offset:         88
        .size:           8
        .value_kind:     by_value
      - .offset:         96
        .size:           8
        .value_kind:     by_value
    .group_segment_fixed_size: 0
    .kernarg_segment_align: 8
    .kernarg_segment_size: 104
    .language:       OpenCL C
    .language_version:
      - 2
      - 0
    .max_flat_workgroup_size: 1024
    .name:           _ZL26rocblas_dgmm_gfx942_kernelILi32ELi32ELb0EPKPK19rocblas_complex_numIdEPKPS1_EviiT2_lllS9_lllT3_lll
    .private_segment_fixed_size: 0
    .sgpr_count:     6
    .sgpr_spill_count: 0
    .symbol:         _ZL26rocblas_dgmm_gfx942_kernelILi32ELi32ELb0EPKPK19rocblas_complex_numIdEPKPS1_EviiT2_lllS9_lllT3_lll.kd
    .uniform_work_group_size: 1
    .uses_dynamic_stack: false
    .vgpr_count:     0
    .vgpr_spill_count: 0
    .wavefront_size: 64
  - .agpr_count:     0
    .args:
      - .offset:         0
        .size:           4
        .value_kind:     by_value
      - .offset:         4
        .size:           4
        .value_kind:     by_value
      - .address_space:  global
        .offset:         8
        .size:           8
        .value_kind:     global_buffer
      - .offset:         16
        .size:           8
        .value_kind:     by_value
      - .offset:         24
        .size:           8
        .value_kind:     by_value
      - .offset:         32
        .size:           8
        .value_kind:     by_value
      - .address_space:  global
        .offset:         40
        .size:           8
        .value_kind:     global_buffer
      - .offset:         48
        .size:           8
        .value_kind:     by_value
      - .offset:         56
        .size:           8
        .value_kind:     by_value
      - .offset:         64
        .size:           8
        .value_kind:     by_value
      - .address_space:  global
        .offset:         72
        .size:           8
        .value_kind:     global_buffer
      - .offset:         80
        .size:           8
        .value_kind:     by_value
      - .offset:         88
        .size:           8
        .value_kind:     by_value
      - .offset:         96
        .size:           8
        .value_kind:     by_value
      - .offset:         104
        .size:           4
        .value_kind:     by_value
      - .offset:         112
        .size:           4
        .value_kind:     hidden_block_count_x
      - .offset:         116
        .size:           4
        .value_kind:     hidden_block_count_y
      - .offset:         120
        .size:           4
        .value_kind:     hidden_block_count_z
      - .offset:         124
        .size:           2
        .value_kind:     hidden_group_size_x
      - .offset:         126
        .size:           2
        .value_kind:     hidden_group_size_y
      - .offset:         128
        .size:           2
        .value_kind:     hidden_group_size_z
      - .offset:         130
        .size:           2
        .value_kind:     hidden_remainder_x
      - .offset:         132
        .size:           2
        .value_kind:     hidden_remainder_y
      - .offset:         134
        .size:           2
        .value_kind:     hidden_remainder_z
      - .offset:         152
        .size:           8
        .value_kind:     hidden_global_offset_x
      - .offset:         160
        .size:           8
        .value_kind:     hidden_global_offset_y
      - .offset:         168
        .size:           8
        .value_kind:     hidden_global_offset_z
      - .offset:         176
        .size:           2
        .value_kind:     hidden_grid_dims
    .group_segment_fixed_size: 0
    .kernarg_segment_align: 8
    .kernarg_segment_size: 368
    .language:       OpenCL C
    .language_version:
      - 2
      - 0
    .max_flat_workgroup_size: 256
    .name:           _ZL19rocblas_dgmm_kernelILi16ELi16ELb0EPKPK19rocblas_complex_numIdEPKPS1_EviiT2_lllS9_lllT3_llli
    .private_segment_fixed_size: 0
    .sgpr_count:     32
    .sgpr_spill_count: 0
    .symbol:         _ZL19rocblas_dgmm_kernelILi16ELi16ELb0EPKPK19rocblas_complex_numIdEPKPS1_EviiT2_lllS9_lllT3_llli.kd
    .uniform_work_group_size: 1
    .uses_dynamic_stack: false
    .vgpr_count:     22
    .vgpr_spill_count: 0
    .wavefront_size: 64
  - .agpr_count:     0
    .args:
      - .offset:         0
        .size:           4
        .value_kind:     by_value
      - .offset:         4
        .size:           4
        .value_kind:     by_value
      - .address_space:  global
        .offset:         8
        .size:           8
        .value_kind:     global_buffer
      - .offset:         16
        .size:           8
        .value_kind:     by_value
      - .offset:         24
        .size:           8
        .value_kind:     by_value
      - .offset:         32
        .size:           8
        .value_kind:     by_value
      - .address_space:  global
        .offset:         40
        .size:           8
        .value_kind:     global_buffer
      - .offset:         48
        .size:           8
        .value_kind:     by_value
      - .offset:         56
        .size:           8
        .value_kind:     by_value
      - .offset:         64
        .size:           8
        .value_kind:     by_value
      - .address_space:  global
        .offset:         72
        .size:           8
        .value_kind:     global_buffer
      - .offset:         80
        .size:           8
        .value_kind:     by_value
      - .offset:         88
        .size:           8
        .value_kind:     by_value
      - .offset:         96
        .size:           8
        .value_kind:     by_value
    .group_segment_fixed_size: 0
    .kernarg_segment_align: 8
    .kernarg_segment_size: 104
    .language:       OpenCL C
    .language_version:
      - 2
      - 0
    .max_flat_workgroup_size: 1024
    .name:           _ZL26rocblas_dgmm_gfx942_kernelILi32ELi32ELb1EPKPK19rocblas_complex_numIdEPKPS1_EviiT2_lllS9_lllT3_lll
    .private_segment_fixed_size: 0
    .sgpr_count:     6
    .sgpr_spill_count: 0
    .symbol:         _ZL26rocblas_dgmm_gfx942_kernelILi32ELi32ELb1EPKPK19rocblas_complex_numIdEPKPS1_EviiT2_lllS9_lllT3_lll.kd
    .uniform_work_group_size: 1
    .uses_dynamic_stack: false
    .vgpr_count:     0
    .vgpr_spill_count: 0
    .wavefront_size: 64
  - .agpr_count:     0
    .args:
      - .offset:         0
        .size:           4
        .value_kind:     by_value
      - .offset:         4
        .size:           4
        .value_kind:     by_value
      - .address_space:  global
        .offset:         8
        .size:           8
        .value_kind:     global_buffer
      - .offset:         16
        .size:           8
        .value_kind:     by_value
      - .offset:         24
        .size:           8
        .value_kind:     by_value
      - .offset:         32
        .size:           8
        .value_kind:     by_value
      - .address_space:  global
        .offset:         40
        .size:           8
        .value_kind:     global_buffer
      - .offset:         48
        .size:           8
        .value_kind:     by_value
      - .offset:         56
        .size:           8
        .value_kind:     by_value
      - .offset:         64
        .size:           8
        .value_kind:     by_value
      - .address_space:  global
        .offset:         72
        .size:           8
        .value_kind:     global_buffer
      - .offset:         80
        .size:           8
        .value_kind:     by_value
      - .offset:         88
        .size:           8
        .value_kind:     by_value
      - .offset:         96
        .size:           8
        .value_kind:     by_value
      - .offset:         104
        .size:           4
        .value_kind:     by_value
      - .offset:         112
        .size:           4
        .value_kind:     hidden_block_count_x
      - .offset:         116
        .size:           4
        .value_kind:     hidden_block_count_y
      - .offset:         120
        .size:           4
        .value_kind:     hidden_block_count_z
      - .offset:         124
        .size:           2
        .value_kind:     hidden_group_size_x
      - .offset:         126
        .size:           2
        .value_kind:     hidden_group_size_y
      - .offset:         128
        .size:           2
        .value_kind:     hidden_group_size_z
      - .offset:         130
        .size:           2
        .value_kind:     hidden_remainder_x
      - .offset:         132
        .size:           2
        .value_kind:     hidden_remainder_y
      - .offset:         134
        .size:           2
        .value_kind:     hidden_remainder_z
      - .offset:         152
        .size:           8
        .value_kind:     hidden_global_offset_x
      - .offset:         160
        .size:           8
        .value_kind:     hidden_global_offset_y
      - .offset:         168
        .size:           8
        .value_kind:     hidden_global_offset_z
      - .offset:         176
        .size:           2
        .value_kind:     hidden_grid_dims
    .group_segment_fixed_size: 0
    .kernarg_segment_align: 8
    .kernarg_segment_size: 368
    .language:       OpenCL C
    .language_version:
      - 2
      - 0
    .max_flat_workgroup_size: 256
    .name:           _ZL19rocblas_dgmm_kernelILi16ELi16ELb1EPKPK19rocblas_complex_numIdEPKPS1_EviiT2_lllS9_lllT3_llli
    .private_segment_fixed_size: 0
    .sgpr_count:     30
    .sgpr_spill_count: 0
    .symbol:         _ZL19rocblas_dgmm_kernelILi16ELi16ELb1EPKPK19rocblas_complex_numIdEPKPS1_EviiT2_lllS9_lllT3_llli.kd
    .uniform_work_group_size: 1
    .uses_dynamic_stack: false
    .vgpr_count:     20
    .vgpr_spill_count: 0
    .wavefront_size: 64
amdhsa.target:   amdgcn-amd-amdhsa--gfx950
amdhsa.version:
  - 1
  - 2
...

	.end_amdgpu_metadata
